;; amdgpu-corpus repo=ROCm/rocFFT kind=compiled arch=gfx906 opt=O3
	.text
	.amdgcn_target "amdgcn-amd-amdhsa--gfx906"
	.amdhsa_code_object_version 6
	.protected	bluestein_single_fwd_len1530_dim1_sp_op_CI_CI ; -- Begin function bluestein_single_fwd_len1530_dim1_sp_op_CI_CI
	.globl	bluestein_single_fwd_len1530_dim1_sp_op_CI_CI
	.p2align	8
	.type	bluestein_single_fwd_len1530_dim1_sp_op_CI_CI,@function
bluestein_single_fwd_len1530_dim1_sp_op_CI_CI: ; @bluestein_single_fwd_len1530_dim1_sp_op_CI_CI
; %bb.0:
	s_mov_b64 s[26:27], s[2:3]
	s_mov_b64 s[24:25], s[0:1]
	s_load_dwordx4 s[0:3], s[4:5], 0x28
	v_mul_u32_u24_e32 v1, 0x283, v0
	v_add_u32_sdwa v108, s6, v1 dst_sel:DWORD dst_unused:UNUSED_PAD src0_sel:DWORD src1_sel:WORD_1
	v_mov_b32_e32 v109, 0
	s_add_u32 s24, s24, s7
	s_waitcnt lgkmcnt(0)
	v_cmp_gt_u64_e32 vcc, s[0:1], v[108:109]
	s_addc_u32 s25, s25, 0
	s_and_saveexec_b64 s[0:1], vcc
	s_cbranch_execz .LBB0_23
; %bb.1:
	s_load_dwordx2 s[6:7], s[4:5], 0x0
	s_load_dwordx2 s[12:13], s[4:5], 0x38
	s_movk_i32 s0, 0x66
	v_mul_lo_u16_sdwa v1, v1, s0 dst_sel:DWORD dst_unused:UNUSED_PAD src0_sel:WORD_1 src1_sel:DWORD
	v_sub_u16_e32 v124, v0, v1
	s_movk_i32 s0, 0x5a
	v_cmp_gt_u16_e64 s[0:1], s0, v124
	v_lshlrev_b32_e32 v123, 3, v124
	s_and_saveexec_b64 s[8:9], s[0:1]
	s_cbranch_execz .LBB0_3
; %bb.2:
	s_load_dwordx2 s[10:11], s[4:5], 0x18
	s_waitcnt lgkmcnt(0)
	s_load_dwordx4 s[16:19], s[10:11], 0x0
	s_waitcnt lgkmcnt(0)
	v_mad_u64_u32 v[0:1], s[10:11], s18, v108, 0
	v_mad_u64_u32 v[2:3], s[10:11], s16, v124, 0
	;; [unrolled: 1-line block ×4, first 2 shown]
	v_mov_b32_e32 v1, v4
	v_lshlrev_b64 v[0:1], 3, v[0:1]
	v_mov_b32_e32 v3, v5
	v_mov_b32_e32 v6, s3
	v_lshlrev_b64 v[2:3], 3, v[2:3]
	v_add_co_u32_e32 v0, vcc, s2, v0
	v_addc_co_u32_e32 v1, vcc, v6, v1, vcc
	v_add_co_u32_e32 v0, vcc, v0, v2
	v_addc_co_u32_e32 v1, vcc, v1, v3, vcc
	v_mov_b32_e32 v2, s7
	v_add_co_u32_e32 v52, vcc, s6, v123
	s_mul_i32 s2, s17, 0x2d0
	s_mul_hi_u32 s3, s16, 0x2d0
	v_addc_co_u32_e32 v53, vcc, 0, v2, vcc
	s_add_i32 s2, s3, s2
	s_mul_i32 s3, s16, 0x2d0
	v_mov_b32_e32 v3, s2
	v_add_co_u32_e32 v2, vcc, s3, v0
	v_addc_co_u32_e32 v3, vcc, v1, v3, vcc
	v_mov_b32_e32 v5, s2
	v_add_co_u32_e32 v4, vcc, s3, v2
	v_addc_co_u32_e32 v5, vcc, v3, v5, vcc
	;; [unrolled: 3-line block ×3, first 2 shown]
	global_load_dwordx2 v[8:9], v[0:1], off
	global_load_dwordx2 v[10:11], v[2:3], off
	;; [unrolled: 1-line block ×4, first 2 shown]
	global_load_dwordx2 v[16:17], v123, s[6:7]
	global_load_dwordx2 v[18:19], v123, s[6:7] offset:720
	global_load_dwordx2 v[20:21], v123, s[6:7] offset:1440
	;; [unrolled: 1-line block ×3, first 2 shown]
	v_mov_b32_e32 v1, s2
	v_add_co_u32_e32 v0, vcc, s3, v6
	v_addc_co_u32_e32 v1, vcc, v7, v1, vcc
	global_load_dwordx2 v[2:3], v[0:1], off
	v_mov_b32_e32 v4, s2
	v_add_co_u32_e32 v0, vcc, s3, v0
	v_addc_co_u32_e32 v1, vcc, v1, v4, vcc
	global_load_dwordx2 v[4:5], v[0:1], off
	global_load_dwordx2 v[6:7], v123, s[6:7] offset:2880
	global_load_dwordx2 v[24:25], v123, s[6:7] offset:3600
	v_mov_b32_e32 v26, s2
	v_add_co_u32_e32 v0, vcc, s3, v0
	v_addc_co_u32_e32 v1, vcc, v1, v26, vcc
	s_movk_i32 s10, 0x1000
	v_add_co_u32_e32 v28, vcc, s10, v52
	v_addc_co_u32_e32 v29, vcc, 0, v53, vcc
	global_load_dwordx2 v[26:27], v[0:1], off
	v_mov_b32_e32 v30, s2
	v_add_co_u32_e32 v0, vcc, s3, v0
	v_addc_co_u32_e32 v1, vcc, v1, v30, vcc
	global_load_dwordx2 v[30:31], v[0:1], off
	v_mov_b32_e32 v32, s2
	;; [unrolled: 4-line block ×3, first 2 shown]
	v_add_co_u32_e32 v0, vcc, s3, v0
	v_addc_co_u32_e32 v1, vcc, v1, v34, vcc
	global_load_dwordx2 v[34:35], v[0:1], off
	global_load_dwordx2 v[36:37], v[28:29], off offset:224
	global_load_dwordx2 v[38:39], v[28:29], off offset:944
	;; [unrolled: 1-line block ×4, first 2 shown]
	v_mov_b32_e32 v44, s2
	v_add_co_u32_e32 v0, vcc, s3, v0
	v_addc_co_u32_e32 v1, vcc, v1, v44, vcc
	global_load_dwordx2 v[44:45], v[0:1], off
	v_mov_b32_e32 v46, s2
	v_add_co_u32_e32 v0, vcc, s3, v0
	v_addc_co_u32_e32 v1, vcc, v1, v46, vcc
	global_load_dwordx2 v[46:47], v[0:1], off
	global_load_dwordx2 v[48:49], v[28:29], off offset:3104
	global_load_dwordx2 v[50:51], v[28:29], off offset:3824
	v_mov_b32_e32 v28, s2
	v_add_co_u32_e32 v0, vcc, s3, v0
	v_addc_co_u32_e32 v1, vcc, v1, v28, vcc
	s_movk_i32 s10, 0x2000
	v_add_co_u32_e32 v52, vcc, s10, v52
	v_addc_co_u32_e32 v53, vcc, 0, v53, vcc
	global_load_dwordx2 v[28:29], v[0:1], off
	v_mov_b32_e32 v56, s2
	v_add_co_u32_e32 v0, vcc, s3, v0
	v_addc_co_u32_e32 v1, vcc, v1, v56, vcc
	global_load_dwordx2 v[56:57], v[0:1], off
	v_mov_b32_e32 v58, s2
	v_add_co_u32_e32 v0, vcc, s3, v0
	v_addc_co_u32_e32 v1, vcc, v1, v58, vcc
	global_load_dwordx2 v[54:55], v[52:53], off offset:448
	global_load_dwordx2 v[58:59], v[52:53], off offset:1168
	global_load_dwordx2 v[60:61], v[0:1], off
	global_load_dwordx2 v[62:63], v[52:53], off offset:1888
	v_mov_b32_e32 v64, s2
	v_add_co_u32_e32 v0, vcc, s3, v0
	v_addc_co_u32_e32 v1, vcc, v1, v64, vcc
	global_load_dwordx2 v[64:65], v[0:1], off
	global_load_dwordx2 v[66:67], v[52:53], off offset:2608
	v_mov_b32_e32 v68, s2
	v_add_co_u32_e32 v0, vcc, s3, v0
	v_addc_co_u32_e32 v1, vcc, v1, v68, vcc
	global_load_dwordx2 v[68:69], v[0:1], off
	global_load_dwordx2 v[70:71], v[52:53], off offset:3328
	s_waitcnt vmcnt(29)
	v_mul_f32_e32 v0, v9, v17
	v_mul_f32_e32 v1, v8, v17
	v_fmac_f32_e32 v0, v8, v16
	v_fma_f32 v1, v9, v16, -v1
	s_waitcnt vmcnt(28)
	v_mul_f32_e32 v8, v11, v19
	v_mul_f32_e32 v9, v10, v19
	v_fmac_f32_e32 v8, v10, v18
	v_fma_f32 v9, v11, v18, -v9
	ds_write2_b64 v123, v[0:1], v[8:9] offset1:90
	s_waitcnt vmcnt(27)
	v_mul_f32_e32 v0, v13, v21
	v_mul_f32_e32 v1, v12, v21
	s_waitcnt vmcnt(26)
	v_mul_f32_e32 v8, v15, v23
	v_mul_f32_e32 v9, v14, v23
	v_fmac_f32_e32 v0, v12, v20
	v_fma_f32 v1, v13, v20, -v1
	v_fmac_f32_e32 v8, v14, v22
	v_fma_f32 v9, v15, v22, -v9
	v_add_u32_e32 v10, 0x400, v123
	ds_write2_b64 v10, v[0:1], v[8:9] offset0:52 offset1:142
	s_waitcnt vmcnt(23)
	v_mul_f32_e32 v0, v3, v7
	v_mul_f32_e32 v1, v2, v7
	v_fmac_f32_e32 v0, v2, v6
	v_fma_f32 v1, v3, v6, -v1
	s_waitcnt vmcnt(22)
	v_mul_f32_e32 v2, v5, v25
	v_mul_f32_e32 v3, v4, v25
	v_fmac_f32_e32 v2, v4, v24
	v_fma_f32 v3, v5, v24, -v3
	v_add_u32_e32 v4, 0x800, v123
	ds_write2_b64 v4, v[0:1], v[2:3] offset0:104 offset1:194
	s_waitcnt vmcnt(17)
	v_mul_f32_e32 v0, v27, v37
	v_mul_f32_e32 v1, v26, v37
	s_waitcnt vmcnt(16)
	v_mul_f32_e32 v2, v31, v39
	v_mul_f32_e32 v3, v30, v39
	v_fmac_f32_e32 v0, v26, v36
	v_fma_f32 v1, v27, v36, -v1
	v_fmac_f32_e32 v2, v30, v38
	v_fma_f32 v3, v31, v38, -v3
	v_add_u32_e32 v4, 0x1000, v123
	ds_write2_b64 v4, v[0:1], v[2:3] offset0:28 offset1:118
	s_waitcnt vmcnt(15)
	v_mul_f32_e32 v0, v33, v41
	v_mul_f32_e32 v1, v32, v41
	s_waitcnt vmcnt(14)
	v_mul_f32_e32 v2, v35, v43
	v_mul_f32_e32 v3, v34, v43
	v_fmac_f32_e32 v0, v32, v40
	v_fma_f32 v1, v33, v40, -v1
	;; [unrolled: 12-line block ×3, first 2 shown]
	v_fmac_f32_e32 v2, v46, v50
	v_fma_f32 v3, v47, v50, -v3
	v_add_u32_e32 v4, 0x1800, v123
	ds_write2_b64 v4, v[0:1], v[2:3] offset0:132 offset1:222
	v_add_u32_e32 v4, 0x2000, v123
	s_waitcnt vmcnt(6)
	v_mul_f32_e32 v2, v57, v59
	v_mul_f32_e32 v0, v29, v55
	;; [unrolled: 1-line block ×4, first 2 shown]
	v_fmac_f32_e32 v0, v28, v54
	v_fma_f32 v1, v29, v54, -v1
	v_fmac_f32_e32 v2, v56, v58
	v_fma_f32 v3, v57, v58, -v3
	ds_write2_b64 v4, v[0:1], v[2:3] offset0:56 offset1:146
	s_waitcnt vmcnt(4)
	v_mul_f32_e32 v0, v61, v63
	v_mul_f32_e32 v1, v60, v63
	s_waitcnt vmcnt(2)
	v_mul_f32_e32 v2, v65, v67
	v_mul_f32_e32 v3, v64, v67
	v_fmac_f32_e32 v0, v60, v62
	v_fma_f32 v1, v61, v62, -v1
	v_fmac_f32_e32 v2, v64, v66
	v_fma_f32 v3, v65, v66, -v3
	v_add_u32_e32 v4, 0x2400, v123
	ds_write2_b64 v4, v[0:1], v[2:3] offset0:108 offset1:198
	s_waitcnt vmcnt(0)
	v_mul_f32_e32 v0, v69, v71
	v_mul_f32_e32 v1, v68, v71
	v_fmac_f32_e32 v0, v68, v70
	v_fma_f32 v1, v69, v70, -v1
	ds_write_b64 v123, v[0:1] offset:11520
.LBB0_3:
	s_or_b64 exec, exec, s[8:9]
	s_load_dwordx2 s[2:3], s[4:5], 0x20
	s_load_dwordx2 s[14:15], s[4:5], 0x8
	v_mov_b32_e32 v0, 0
	v_mov_b32_e32 v1, 0
	s_waitcnt lgkmcnt(0)
	s_barrier
	s_waitcnt lgkmcnt(0)
                                        ; implicit-def: $vgpr18
                                        ; implicit-def: $vgpr12
                                        ; implicit-def: $vgpr8
                                        ; implicit-def: $vgpr4
                                        ; implicit-def: $vgpr32
                                        ; implicit-def: $vgpr22
                                        ; implicit-def: $vgpr26
                                        ; implicit-def: $vgpr30
	s_and_saveexec_b64 s[4:5], s[0:1]
	s_cbranch_execz .LBB0_5
; %bb.4:
	v_add_u32_e32 v4, 0x400, v123
	ds_read2_b64 v[28:31], v4 offset0:52 offset1:142
	v_add_u32_e32 v4, 0x800, v123
	ds_read2_b64 v[24:27], v4 offset0:104 offset1:194
	;; [unrolled: 2-line block ×6, first 2 shown]
	v_add_u32_e32 v4, 0x2400, v123
	ds_read2_b64 v[0:3], v123 offset1:90
	ds_read2_b64 v[4:7], v4 offset0:108 offset1:198
	ds_read_b64 v[32:33], v123 offset:11520
.LBB0_5:
	s_or_b64 exec, exec, s[4:5]
	s_waitcnt lgkmcnt(0)
	v_sub_f32_e32 v64, v3, v33
	v_mul_f32_e32 v52, 0xbeb8f4ab, v64
	v_add_f32_e32 v34, v32, v2
	v_sub_f32_e32 v69, v2, v32
	v_mov_b32_e32 v35, v52
	v_add_f32_e32 v36, v33, v3
	s_mov_b32 s8, 0x3f6eb680
	v_mul_f32_e32 v54, 0xbeb8f4ab, v69
	v_fmac_f32_e32 v35, 0x3f6eb680, v34
	v_sub_f32_e32 v67, v29, v7
	v_add_f32_e32 v37, v35, v0
	v_fma_f32 v35, v36, s8, -v54
	v_mul_f32_e32 v53, 0xbf2c7751, v67
	v_add_f32_e32 v39, v35, v1
	v_add_f32_e32 v35, v6, v28
	v_sub_f32_e32 v71, v28, v6
	v_mov_b32_e32 v40, v53
	s_mov_b32 s9, 0x3f3d2fb0
	v_add_f32_e32 v38, v7, v29
	v_mul_f32_e32 v56, 0xbf2c7751, v71
	v_fmac_f32_e32 v40, 0x3f3d2fb0, v35
	v_sub_f32_e32 v70, v31, v5
	v_add_f32_e32 v41, v40, v37
	v_fma_f32 v37, v38, s9, -v56
	v_mul_f32_e32 v55, 0xbf65296c, v70
	v_add_f32_e32 v39, v37, v39
	v_add_f32_e32 v37, v4, v30
	v_sub_f32_e32 v74, v30, v4
	v_mov_b32_e32 v42, v55
	v_add_f32_e32 v40, v5, v31
	s_mov_b32 s11, 0x3ee437d1
	v_mul_f32_e32 v58, 0xbf65296c, v74
	v_fmac_f32_e32 v42, 0x3ee437d1, v37
	v_sub_f32_e32 v73, v25, v11
	v_add_f32_e32 v41, v42, v41
	v_fma_f32 v42, v40, s11, -v58
	v_mul_f32_e32 v57, 0xbf7ee86f, v73
	v_add_f32_e32 v43, v42, v39
	v_add_f32_e32 v39, v10, v24
	v_sub_f32_e32 v76, v24, v10
	v_mov_b32_e32 v44, v57
	s_mov_b32 s10, 0x3dbcf732
	v_add_f32_e32 v42, v11, v25
	v_mul_f32_e32 v60, 0xbf7ee86f, v76
	v_fmac_f32_e32 v44, 0x3dbcf732, v39
	v_sub_f32_e32 v75, v27, v9
	v_add_f32_e32 v44, v44, v41
	v_fma_f32 v41, v42, s10, -v60
	v_mul_f32_e32 v59, 0xbf763a35, v75
	v_add_f32_e32 v43, v41, v43
	;; [unrolled: 24-line block ×3, first 2 shown]
	v_add_f32_e32 v47, v12, v22
	v_sub_f32_e32 v91, v22, v12
	v_mov_b32_e32 v49, v63
	s_mov_b32 s19, 0xbf59a7d5
	v_add_f32_e32 v50, v13, v23
	v_mul_f32_e32 v68, 0xbf06c442, v91
	v_fmac_f32_e32 v49, 0xbf59a7d5, v47
	v_sub_f32_e32 v87, v17, v19
	v_add_f32_e32 v44, v49, v44
	v_fma_f32 v49, v50, s19, -v68
	v_mul_f32_e32 v66, 0xbe3c28d5, v87
	v_add_f32_e32 v45, v49, v45
	v_add_f32_e32 v49, v18, v16
	v_mov_b32_e32 v79, v66
	v_sub_f32_e32 v92, v16, v18
	s_mov_b32 s17, 0xbf7ba420
	v_fmac_f32_e32 v79, 0xbf7ba420, v49
	v_add_f32_e32 v51, v19, v17
	v_mul_f32_e32 v72, 0xbe3c28d5, v92
	v_fma_f32 v80, v51, s17, -v72
	v_add_f32_e32 v44, v79, v44
	v_mul_f32_e32 v79, 0xbf2c7751, v64
	v_add_f32_e32 v45, v80, v45
	v_mov_b32_e32 v80, v79
	v_mul_f32_e32 v82, 0xbf7ee86f, v67
	v_fmac_f32_e32 v80, 0x3f3d2fb0, v34
	v_mov_b32_e32 v81, v82
	v_add_f32_e32 v80, v80, v0
	v_fmac_f32_e32 v81, 0x3dbcf732, v35
	v_mul_f32_e32 v97, 0xbf2c7751, v69
	v_add_f32_e32 v80, v81, v80
	v_fma_f32 v81, v36, s9, -v97
	v_mul_f32_e32 v98, 0xbf7ee86f, v71
	v_add_f32_e32 v81, v81, v1
	v_fma_f32 v84, v38, s10, -v98
	v_add_f32_e32 v81, v84, v81
	v_mul_f32_e32 v84, 0xbf4c4adb, v70
	v_mov_b32_e32 v86, v84
	v_fmac_f32_e32 v86, 0xbf1a4643, v37
	v_mul_f32_e32 v101, 0xbf4c4adb, v74
	v_add_f32_e32 v80, v86, v80
	v_fma_f32 v86, v40, s16, -v101
	v_add_f32_e32 v81, v86, v81
	v_mul_f32_e32 v86, 0xbe3c28d5, v73
	v_mov_b32_e32 v88, v86
	v_fmac_f32_e32 v88, 0xbf7ba420, v39
	;; [unrolled: 7-line block ×5, first 2 shown]
	v_mul_f32_e32 v109, 0x3f65296c, v91
	v_add_f32_e32 v80, v93, v80
	v_fma_f32 v93, v50, s11, -v109
	v_mul_f32_e32 v94, 0x3eb8f4ab, v87
	v_add_f32_e32 v81, v93, v81
	v_mov_b32_e32 v93, v94
	v_fmac_f32_e32 v93, 0x3f6eb680, v49
	v_mul_f32_e32 v110, 0x3eb8f4ab, v92
	v_add_f32_e32 v80, v93, v80
	v_fma_f32 v93, v51, s8, -v110
	v_add_f32_e32 v81, v93, v81
	s_barrier
	s_and_saveexec_b64 s[4:5], s[0:1]
	s_cbranch_execz .LBB0_7
; %bb.6:
	v_add_f32_e32 v2, v2, v0
	v_add_f32_e32 v3, v3, v1
	;; [unrolled: 1-line block ×19, first 2 shown]
	v_mul_f32_e32 v117, 0xbf06c442, v64
	v_add_f32_e32 v13, v13, v17
	v_add_f32_e32 v12, v14, v12
	v_fma_f32 v14, v34, s19, -v117
	v_mul_f32_e32 v118, 0x3f65296c, v67
	v_add_f32_e32 v13, v15, v13
	v_add_f32_e32 v14, v14, v0
	v_fma_f32 v15, v35, s11, -v118
	v_add_f32_e32 v8, v8, v12
	v_mul_f32_e32 v120, 0xbf7ee86f, v70
	v_add_f32_e32 v14, v15, v14
	v_add_f32_e32 v9, v9, v13
	;; [unrolled: 1-line block ×3, first 2 shown]
	v_fma_f32 v8, v37, s10, -v120
	v_mul_f32_e32 v121, 0x3f4c4adb, v73
	v_add_f32_e32 v9, v11, v9
	v_add_f32_e32 v8, v8, v14
	v_fma_f32 v11, v39, s16, -v121
	v_mul_f32_e32 v122, 0xbeb8f4ab, v75
	v_add_f32_e32 v4, v4, v10
	v_add_f32_e32 v8, v11, v8
	v_fma_f32 v11, v41, s8, -v122
	v_add_f32_e32 v5, v5, v9
	v_add_f32_e32 v4, v6, v4
	v_mul_f32_e32 v6, 0xbe3c28d5, v77
	v_add_f32_e32 v11, v11, v8
	v_add_f32_e32 v5, v7, v5
	v_fma_f32 v7, v43, s17, -v6
	v_mul_f32_e32 v125, 0x3f2c7751, v83
	v_add_f32_e32 v7, v7, v11
	v_fma_f32 v9, v47, s9, -v125
	v_mul_f32_e32 v126, 0xbf763a35, v87
	;; [unrolled: 3-line block ×3, first 2 shown]
	v_add_f32_e32 v7, v9, v7
	v_add_f32_e32 v4, v32, v4
	v_mov_b32_e32 v9, v127
	v_mul_f32_e32 v32, 0x3f763a35, v71
	v_fmac_f32_e32 v9, 0xbf1a4643, v36
	v_mov_b32_e32 v10, v32
	v_add_f32_e32 v5, v33, v5
	v_add_f32_e32 v9, v9, v1
	v_fmac_f32_e32 v10, 0xbe8c1d8e, v38
	v_mul_f32_e32 v33, 0xbeb8f4ab, v74
	v_add_f32_e32 v9, v10, v9
	v_mov_b32_e32 v10, v33
	v_fmac_f32_e32 v10, 0x3f6eb680, v40
	v_mul_f32_e32 v128, 0xbf06c442, v76
	v_add_f32_e32 v9, v10, v9
	v_mov_b32_e32 v10, v128
	;; [unrolled: 4-line block ×5, first 2 shown]
	v_fmac_f32_e32 v10, 0xbf7ba420, v50
	v_mul_f32_e32 v132, 0xbf4c4adb, v64
	v_add_f32_e32 v9, v10, v9
	v_fma_f32 v10, v34, s16, -v132
	v_mul_f32_e32 v133, 0x3f763a35, v67
	v_add_f32_e32 v10, v10, v0
	v_fma_f32 v11, v35, s18, -v133
	;; [unrolled: 3-line block ×7, first 2 shown]
	v_mul_f32_e32 v139, 0x3f65296c, v92
	v_add_f32_e32 v11, v11, v10
	v_mov_b32_e32 v10, v139
	v_fmac_f32_e32 v10, 0x3ee437d1, v51
	v_mul_f32_e32 v140, 0x3f65296c, v87
	v_add_f32_e32 v10, v10, v9
	v_fma_f32 v9, v49, s11, -v140
	v_mul_f32_e32 v141, 0xbf763a35, v69
	v_add_f32_e32 v9, v9, v11
	v_mov_b32_e32 v11, v141
	v_mul_f32_e32 v142, 0x3f06c442, v71
	v_fmac_f32_e32 v11, 0xbe8c1d8e, v36
	v_mov_b32_e32 v12, v142
	v_add_f32_e32 v11, v11, v1
	v_fmac_f32_e32 v12, 0xbf59a7d5, v38
	v_mul_f32_e32 v143, 0x3f2c7751, v74
	v_add_f32_e32 v11, v12, v11
	v_mov_b32_e32 v12, v143
	v_fmac_f32_e32 v12, 0x3f3d2fb0, v40
	v_mul_f32_e32 v144, 0xbf65296c, v76
	v_add_f32_e32 v11, v12, v11
	v_mov_b32_e32 v12, v144
	;; [unrolled: 4-line block ×4, first 2 shown]
	v_fmac_f32_e32 v12, 0x3dbcf732, v48
	v_mul_f32_e32 v147, 0xbeb8f4ab, v91
	v_mul_f32_e32 v93, 0xbe3c28d5, v69
	v_add_f32_e32 v11, v12, v11
	v_mov_b32_e32 v12, v147
	v_mov_b32_e32 v95, v93
	v_fmac_f32_e32 v12, 0x3f6eb680, v50
	v_mul_f32_e32 v148, 0xbf763a35, v64
	v_fmac_f32_e32 v95, 0xbf7ba420, v36
	v_add_f32_e32 v11, v12, v11
	v_fma_f32 v12, v34, s18, -v148
	v_mul_f32_e32 v149, 0x3f06c442, v67
	v_add_f32_e32 v96, v95, v1
	v_mul_f32_e32 v95, 0x3eb8f4ab, v71
	v_add_f32_e32 v12, v12, v0
	v_fma_f32 v13, v35, s19, -v149
	v_mul_f32_e32 v150, 0x3f2c7751, v70
	v_mov_b32_e32 v99, v95
	v_add_f32_e32 v12, v13, v12
	v_fma_f32 v13, v37, s9, -v150
	v_mul_f32_e32 v151, 0xbf65296c, v73
	v_fmac_f32_e32 v99, 0x3f6eb680, v38
	v_add_f32_e32 v12, v13, v12
	v_fma_f32 v13, v39, s11, -v151
	v_mul_f32_e32 v152, 0xbe3c28d5, v75
	v_add_f32_e32 v99, v99, v96
	v_mul_f32_e32 v96, 0xbf06c442, v74
	v_add_f32_e32 v12, v13, v12
	v_fma_f32 v13, v41, s17, -v152
	v_mul_f32_e32 v153, 0x3f7ee86f, v77
	v_mov_b32_e32 v100, v96
	v_add_f32_e32 v12, v13, v12
	v_fma_f32 v13, v43, s10, -v153
	v_mul_f32_e32 v154, 0xbeb8f4ab, v83
	v_fmac_f32_e32 v100, 0xbf59a7d5, v40
	v_add_f32_e32 v12, v13, v12
	v_fma_f32 v13, v47, s8, -v154
	v_mul_f32_e32 v155, 0xbf4c4adb, v92
	v_add_f32_e32 v100, v100, v99
	v_mul_f32_e32 v99, 0x3f2c7751, v76
	v_add_f32_e32 v13, v13, v12
	v_mov_b32_e32 v12, v155
	v_mov_b32_e32 v102, v99
	v_fmac_f32_e32 v12, 0xbf1a4643, v51
	v_mul_f32_e32 v156, 0xbf4c4adb, v87
	v_fmac_f32_e32 v102, 0x3f3d2fb0, v42
	v_add_f32_e32 v12, v12, v11
	v_fma_f32 v11, v49, s16, -v156
	v_mul_f32_e32 v157, 0xbf7ee86f, v69
	v_add_f32_e32 v102, v102, v100
	v_mul_f32_e32 v100, 0xbf4c4adb, v78
	v_add_f32_e32 v11, v11, v13
	v_mov_b32_e32 v13, v157
	v_mul_f32_e32 v158, 0xbe3c28d5, v71
	v_mov_b32_e32 v103, v100
	v_fmac_f32_e32 v13, 0x3dbcf732, v36
	v_mov_b32_e32 v14, v158
	v_fmac_f32_e32 v103, 0xbf1a4643, v46
	v_add_f32_e32 v13, v13, v1
	v_fmac_f32_e32 v14, 0xbf7ba420, v38
	v_mul_f32_e32 v159, 0x3f763a35, v74
	v_add_f32_e32 v103, v103, v102
	v_mul_f32_e32 v102, 0x3f65296c, v85
	v_add_f32_e32 v13, v14, v13
	v_mov_b32_e32 v14, v159
	v_mov_b32_e32 v105, v102
	v_fmac_f32_e32 v14, 0xbe8c1d8e, v40
	v_mul_f32_e32 v160, 0x3eb8f4ab, v76
	v_fmac_f32_e32 v105, 0x3ee437d1, v48
	v_add_f32_e32 v13, v14, v13
	v_mov_b32_e32 v14, v160
	v_add_f32_e32 v105, v105, v103
	v_mul_f32_e32 v103, 0xbf763a35, v91
	v_fmac_f32_e32 v14, 0x3f6eb680, v42
	v_mul_f32_e32 v161, 0xbf65296c, v78
	v_mov_b32_e32 v111, v103
	v_add_f32_e32 v13, v14, v13
	v_mov_b32_e32 v14, v161
	v_fmac_f32_e32 v111, 0xbe8c1d8e, v50
	v_fmac_f32_e32 v14, 0x3ee437d1, v46
	v_mul_f32_e32 v162, 0xbf06c442, v85
	v_add_f32_e32 v111, v111, v105
	v_mul_f32_e32 v105, 0xbe3c28d5, v64
	v_add_f32_e32 v13, v14, v13
	v_mov_b32_e32 v14, v162
	v_fma_f32 v112, v34, s17, -v105
	v_mul_f32_e32 v29, 0x3eb8f4ab, v67
	v_fmac_f32_e32 v14, 0xbf59a7d5, v48
	v_mul_f32_e32 v163, 0x3f4c4adb, v91
	v_add_f32_e32 v112, v112, v0
	v_fma_f32 v28, v35, s8, -v29
	v_mul_f32_e32 v30, 0xbf06c442, v70
	v_add_f32_e32 v13, v14, v13
	v_mov_b32_e32 v14, v163
	v_add_f32_e32 v28, v28, v112
	v_fma_f32 v31, v37, s19, -v30
	v_fmac_f32_e32 v14, 0xbf1a4643, v50
	v_mul_f32_e32 v164, 0xbf7ee86f, v64
	v_add_f32_e32 v28, v31, v28
	v_mul_f32_e32 v31, 0x3f2c7751, v73
	v_add_f32_e32 v13, v14, v13
	v_fma_f32 v14, v34, s10, -v164
	v_mul_f32_e32 v165, 0xbe3c28d5, v67
	v_fma_f32 v112, v39, s9, -v31
	v_mul_f32_e32 v24, 0xbf4c4adb, v75
	v_add_f32_e32 v14, v14, v0
	v_fma_f32 v15, v35, s17, -v165
	v_mul_f32_e32 v166, 0x3f763a35, v70
	v_add_f32_e32 v112, v112, v28
	;; [unrolled: 3-line block ×5, first 2 shown]
	v_fma_f32 v15, v39, s8, -v167
	v_mul_f32_e32 v168, 0xbf65296c, v75
	v_mul_f32_e32 v28, 0x3f7ee86f, v92
	v_add_f32_e32 v2, v3, v2
	v_fma_f32 v3, v47, s18, -v26
	v_add_f32_e32 v14, v15, v14
	v_fma_f32 v15, v41, s11, -v168
	v_mul_f32_e32 v169, 0xbf06c442, v77
	v_add_f32_e32 v2, v3, v2
	v_mov_b32_e32 v3, v28
	v_add_f32_e32 v14, v15, v14
	v_fma_f32 v15, v43, s19, -v169
	v_mul_f32_e32 v170, 0x3f4c4adb, v83
	v_fmac_f32_e32 v3, 0x3dbcf732, v51
	v_mul_f32_e32 v27, 0x3f7ee86f, v87
	v_add_f32_e32 v14, v15, v14
	v_fma_f32 v15, v47, s16, -v170
	v_mul_f32_e32 v171, 0x3f2c7751, v92
	v_add_f32_e32 v3, v3, v111
	v_fma_f32 v111, v49, s10, -v27
	v_mul_f32_e32 v23, 0xbf06c442, v69
	v_add_f32_e32 v15, v15, v14
	v_mov_b32_e32 v14, v171
	v_add_f32_e32 v2, v111, v2
	v_mov_b32_e32 v22, v23
	v_mul_f32_e32 v111, 0x3f65296c, v71
	v_fmac_f32_e32 v14, 0x3f3d2fb0, v51
	v_mul_f32_e32 v172, 0x3f2c7751, v87
	v_fmac_f32_e32 v22, 0xbf59a7d5, v36
	v_mov_b32_e32 v112, v111
	v_add_f32_e32 v14, v14, v13
	v_fma_f32 v13, v49, s9, -v172
	v_mul_f32_e32 v69, 0xbf65296c, v69
	v_add_f32_e32 v22, v22, v1
	v_fmac_f32_e32 v112, 0x3ee437d1, v38
	v_add_f32_e32 v13, v13, v15
	v_mov_b32_e32 v15, v69
	v_mul_f32_e32 v71, 0xbf4c4adb, v71
	v_add_f32_e32 v22, v112, v22
	v_mul_f32_e32 v112, 0xbf7ee86f, v74
	v_fmac_f32_e32 v15, 0x3ee437d1, v36
	v_mov_b32_e32 v16, v71
	v_mov_b32_e32 v113, v112
	v_add_f32_e32 v15, v15, v1
	v_fmac_f32_e32 v16, 0xbf1a4643, v38
	v_mul_f32_e32 v74, 0x3e3c28d5, v74
	v_fmac_f32_e32 v113, 0x3dbcf732, v40
	v_add_f32_e32 v15, v16, v15
	v_mov_b32_e32 v16, v74
	v_add_f32_e32 v22, v113, v22
	v_mul_f32_e32 v113, 0x3f4c4adb, v76
	v_fmac_f32_e32 v16, 0xbf7ba420, v40
	v_mul_f32_e32 v76, 0x3f763a35, v76
	v_add_f32_e32 v15, v16, v15
	v_mov_b32_e32 v16, v76
	v_mul_f32_e32 v114, 0xbeb8f4ab, v78
	v_fmac_f32_e32 v16, 0xbe8c1d8e, v42
	v_mul_f32_e32 v78, 0x3f2c7751, v78
	v_add_f32_e32 v15, v16, v15
	v_mov_b32_e32 v16, v78
	;; [unrolled: 5-line block ×4, first 2 shown]
	v_fmac_f32_e32 v16, 0x3dbcf732, v50
	v_mul_f32_e32 v64, 0xbf65296c, v64
	v_add_f32_e32 v15, v16, v15
	v_fma_f32 v16, v34, s11, -v64
	v_mul_f32_e32 v67, 0xbf4c4adb, v67
	v_add_f32_e32 v16, v16, v0
	v_fma_f32 v17, v35, s16, -v67
	v_mul_f32_e32 v70, 0x3e3c28d5, v70
	v_add_f32_e32 v16, v17, v16
	v_fma_f32 v17, v37, s17, -v70
	v_mul_f32_e32 v73, 0x3f763a35, v73
	v_mov_b32_e32 v18, v113
	v_add_f32_e32 v16, v17, v16
	v_fma_f32 v17, v39, s18, -v73
	v_mul_f32_e32 v75, 0x3f2c7751, v75
	v_fmac_f32_e32 v18, 0xbf1a4643, v42
	v_mov_b32_e32 v19, v114
	v_add_f32_e32 v16, v17, v16
	v_fma_f32 v17, v41, s9, -v75
	v_mul_f32_e32 v77, 0xbeb8f4ab, v77
	v_add_f32_e32 v18, v18, v22
	v_fmac_f32_e32 v19, 0x3f6eb680, v46
	v_add_f32_e32 v16, v17, v16
	v_fma_f32 v17, v43, s8, -v77
	v_mul_f32_e32 v83, 0xbf7ee86f, v83
	v_add_f32_e32 v18, v19, v18
	v_mov_b32_e32 v19, v115
	v_mul_f32_e32 v119, 0xbf763a35, v92
	v_add_f32_e32 v16, v17, v16
	v_fma_f32 v17, v47, s10, -v83
	v_mul_f32_e32 v92, 0xbf06c442, v92
	v_fmac_f32_e32 v19, 0xbf7ba420, v48
	v_add_f32_e32 v17, v17, v16
	v_mov_b32_e32 v16, v92
	v_add_f32_e32 v18, v19, v18
	v_mov_b32_e32 v19, v116
	v_fmac_f32_e32 v16, 0xbf59a7d5, v51
	v_mul_f32_e32 v87, 0xbf06c442, v87
	v_fmac_f32_e32 v19, 0x3f3d2fb0, v50
	v_mov_b32_e32 v8, v119
	v_add_f32_e32 v16, v16, v15
	v_fma_f32 v15, v49, s19, -v87
	v_add_f32_e32 v18, v19, v18
	v_fmac_f32_e32 v8, 0xbe8c1d8e, v51
	v_add_f32_e32 v15, v15, v17
	v_mul_f32_e32 v17, 0x3f3d2fb0, v36
	v_mul_f32_e32 v19, 0x3f3d2fb0, v34
	v_add_f32_e32 v8, v8, v18
	v_add_f32_e32 v17, v97, v17
	v_mul_f32_e32 v18, 0x3dbcf732, v38
	v_sub_f32_e32 v19, v19, v79
	v_mul_f32_e32 v20, 0x3dbcf732, v35
	v_add_f32_e32 v18, v98, v18
	v_add_f32_e32 v17, v17, v1
	v_sub_f32_e32 v20, v20, v82
	v_add_f32_e32 v19, v19, v0
	v_add_f32_e32 v17, v18, v17
	v_mul_f32_e32 v18, 0xbf1a4643, v40
	v_add_f32_e32 v19, v20, v19
	v_mul_f32_e32 v20, 0xbf1a4643, v37
	v_add_f32_e32 v18, v101, v18
	v_sub_f32_e32 v20, v20, v84
	v_add_f32_e32 v17, v18, v17
	v_mul_f32_e32 v18, 0xbf7ba420, v42
	v_add_f32_e32 v19, v20, v19
	v_mul_f32_e32 v20, 0xbf7ba420, v39
	v_add_f32_e32 v18, v104, v18
	v_sub_f32_e32 v20, v20, v86
	;; [unrolled: 6-line block ×6, first 2 shown]
	v_add_f32_e32 v18, v18, v17
	v_add_f32_e32 v17, v20, v19
	v_mul_f32_e32 v19, 0x3f6eb680, v36
	v_mul_f32_e32 v21, 0x3f6eb680, v34
	v_add_f32_e32 v19, v54, v19
	v_mul_f32_e32 v20, 0x3f3d2fb0, v38
	v_sub_f32_e32 v21, v21, v52
	v_mul_f32_e32 v22, 0x3f3d2fb0, v35
	v_add_f32_e32 v20, v56, v20
	v_add_f32_e32 v19, v19, v1
	v_sub_f32_e32 v22, v22, v53
	v_add_f32_e32 v21, v21, v0
	v_add_f32_e32 v19, v20, v19
	v_mul_f32_e32 v20, 0x3ee437d1, v40
	v_add_f32_e32 v21, v22, v21
	v_mul_f32_e32 v22, 0x3ee437d1, v37
	v_add_f32_e32 v20, v58, v20
	v_sub_f32_e32 v22, v22, v55
	v_add_f32_e32 v19, v20, v19
	v_mul_f32_e32 v20, 0x3dbcf732, v42
	v_add_f32_e32 v21, v22, v21
	v_mul_f32_e32 v22, 0x3dbcf732, v39
	v_add_f32_e32 v20, v60, v20
	v_sub_f32_e32 v22, v22, v57
	;; [unrolled: 6-line block ×6, first 2 shown]
	v_add_f32_e32 v20, v20, v19
	v_add_f32_e32 v19, v22, v21
	v_fma_f32 v21, v36, s17, -v93
	v_add_f32_e32 v21, v21, v1
	v_fma_f32 v22, v38, s8, -v95
	;; [unrolled: 2-line block ×7, first 2 shown]
	v_fmac_f32_e32 v105, 0xbf7ba420, v34
	v_add_f32_e32 v21, v22, v21
	v_add_f32_e32 v22, v105, v0
	v_fmac_f32_e32 v29, 0x3f6eb680, v35
	v_add_f32_e32 v22, v29, v22
	v_fmac_f32_e32 v30, 0xbf59a7d5, v37
	;; [unrolled: 2-line block ×6, first 2 shown]
	v_add_f32_e32 v24, v26, v22
	v_fma_f32 v22, v51, s10, -v28
	v_fmac_f32_e32 v27, 0x3dbcf732, v49
	v_fma_f32 v23, v36, s19, -v23
	v_add_f32_e32 v22, v22, v21
	v_add_f32_e32 v21, v27, v24
	;; [unrolled: 1-line block ×3, first 2 shown]
	v_fma_f32 v24, v38, s11, -v111
	v_add_f32_e32 v23, v24, v23
	v_fma_f32 v24, v40, s10, -v112
	v_add_f32_e32 v23, v24, v23
	;; [unrolled: 2-line block ×5, first 2 shown]
	v_fma_f32 v24, v50, s9, -v116
	v_fmac_f32_e32 v117, 0xbf59a7d5, v34
	v_add_f32_e32 v23, v24, v23
	v_add_f32_e32 v24, v117, v0
	v_fmac_f32_e32 v118, 0x3ee437d1, v35
	v_add_f32_e32 v24, v118, v24
	v_fmac_f32_e32 v120, 0x3dbcf732, v37
	;; [unrolled: 2-line block ×6, first 2 shown]
	v_fma_f32 v24, v51, s18, -v119
	v_add_f32_e32 v6, v125, v6
	v_fmac_f32_e32 v126, 0xbe8c1d8e, v49
	v_add_f32_e32 v24, v24, v23
	v_add_f32_e32 v23, v126, v6
	v_fma_f32 v6, v36, s16, -v127
	v_add_f32_e32 v6, v6, v1
	v_fma_f32 v25, v38, s18, -v32
	v_add_f32_e32 v6, v25, v6
	v_fma_f32 v25, v40, s8, -v33
	v_add_f32_e32 v6, v25, v6
	v_fma_f32 v25, v42, s19, -v128
	v_add_f32_e32 v6, v25, v6
	v_fma_f32 v25, v46, s10, -v129
	v_add_f32_e32 v6, v25, v6
	v_fma_f32 v25, v48, s9, -v130
	v_add_f32_e32 v6, v25, v6
	v_fma_f32 v25, v50, s17, -v131
	v_add_f32_e32 v6, v25, v6
	v_fma_f32 v25, v51, s11, -v139
	v_fmac_f32_e32 v132, 0xbf1a4643, v34
	v_add_f32_e32 v26, v25, v6
	v_add_f32_e32 v6, v132, v0
	v_fmac_f32_e32 v133, 0xbe8c1d8e, v35
	v_add_f32_e32 v6, v133, v6
	v_fmac_f32_e32 v134, 0x3f6eb680, v37
	v_add_f32_e32 v6, v134, v6
	v_fmac_f32_e32 v135, 0xbf59a7d5, v39
	v_add_f32_e32 v6, v135, v6
	v_fmac_f32_e32 v136, 0x3dbcf732, v41
	v_add_f32_e32 v6, v136, v6
	v_fmac_f32_e32 v137, 0x3f3d2fb0, v43
	v_add_f32_e32 v6, v137, v6
	v_fmac_f32_e32 v138, 0xbf7ba420, v47
	v_add_f32_e32 v6, v138, v6
	v_fmac_f32_e32 v140, 0x3ee437d1, v49
	v_add_f32_e32 v25, v140, v6
	v_fma_f32 v6, v36, s18, -v141
	v_add_f32_e32 v6, v6, v1
	v_fma_f32 v27, v38, s19, -v142
	v_add_f32_e32 v6, v27, v6
	v_fma_f32 v27, v40, s9, -v143
	v_add_f32_e32 v6, v27, v6
	v_fma_f32 v27, v42, s11, -v144
	v_add_f32_e32 v6, v27, v6
	v_fma_f32 v27, v46, s17, -v145
	v_add_f32_e32 v6, v27, v6
	v_fma_f32 v27, v48, s10, -v146
	v_add_f32_e32 v6, v27, v6
	v_fma_f32 v27, v50, s8, -v147
	v_add_f32_e32 v6, v27, v6
	v_fma_f32 v27, v51, s16, -v155
	v_fmac_f32_e32 v148, 0xbe8c1d8e, v34
	v_add_f32_e32 v28, v27, v6
	v_add_f32_e32 v6, v148, v0
	v_fmac_f32_e32 v149, 0xbf59a7d5, v35
	v_add_f32_e32 v6, v149, v6
	v_fmac_f32_e32 v150, 0x3f3d2fb0, v37
	v_add_f32_e32 v6, v150, v6
	v_fmac_f32_e32 v151, 0x3ee437d1, v39
	v_add_f32_e32 v6, v151, v6
	v_fmac_f32_e32 v152, 0xbf7ba420, v41
	v_add_f32_e32 v6, v152, v6
	v_fmac_f32_e32 v153, 0x3dbcf732, v43
	v_add_f32_e32 v6, v153, v6
	v_fmac_f32_e32 v154, 0x3f6eb680, v47
	v_add_f32_e32 v6, v154, v6
	v_fmac_f32_e32 v156, 0xbf1a4643, v49
	;; [unrolled: 32-line block ×3, first 2 shown]
	v_add_f32_e32 v29, v172, v6
	v_fma_f32 v6, v36, s11, -v69
	v_add_f32_e32 v1, v6, v1
	v_fma_f32 v6, v38, s16, -v71
	;; [unrolled: 2-line block ×3, first 2 shown]
	v_fmac_f32_e32 v64, 0x3ee437d1, v34
	v_add_f32_e32 v1, v6, v1
	v_fma_f32 v6, v42, s18, -v76
	v_add_f32_e32 v0, v64, v0
	v_fmac_f32_e32 v67, 0xbf1a4643, v35
	v_add_f32_e32 v1, v6, v1
	v_fma_f32 v6, v46, s9, -v78
	v_add_f32_e32 v0, v67, v0
	;; [unrolled: 4-line block ×5, first 2 shown]
	v_fmac_f32_e32 v77, 0x3f6eb680, v43
	v_add_f32_e32 v1, v6, v1
	v_add_f32_e32 v0, v77, v0
	v_fmac_f32_e32 v83, 0x3dbcf732, v47
	v_mul_lo_u16_e32 v6, 17, v124
	v_add_f32_e32 v0, v83, v0
	v_fmac_f32_e32 v87, 0xbf59a7d5, v49
	v_lshlrev_b32_e32 v6, 3, v6
	v_add_f32_e32 v0, v87, v0
	ds_write2_b64 v6, v[4:5], v[19:20] offset1:1
	ds_write2_b64 v6, v[17:18], v[15:16] offset0:2 offset1:3
	ds_write2_b64 v6, v[13:14], v[11:12] offset0:4 offset1:5
	;; [unrolled: 1-line block ×7, first 2 shown]
	ds_write_b64 v6, v[44:45] offset:128
.LBB0_7:
	s_or_b64 exec, exec, s[4:5]
	s_movk_i32 s16, 0xf1
	v_mul_lo_u16_sdwa v0, v124, s16 dst_sel:DWORD dst_unused:UNUSED_PAD src0_sel:BYTE_0 src1_sel:DWORD
	v_lshrrev_b16_e32 v56, 12, v0
	v_add_co_u32_e32 v84, vcc, 0x66, v124
	v_mul_lo_u16_e32 v0, 17, v56
	v_sub_u16_e32 v0, v124, v0
	v_mul_lo_u16_sdwa v1, v84, s16 dst_sel:DWORD dst_unused:UNUSED_PAD src0_sel:BYTE_0 src1_sel:DWORD
	v_and_b32_e32 v57, 0xff, v0
	v_lshrrev_b16_e32 v58, 12, v1
	s_load_dwordx4 s[8:11], s[2:3], 0x0
	s_mov_b64 s[2:3], vcc
	v_add_co_u32_e32 v82, vcc, 0xcc, v124
	v_lshlrev_b32_e32 v0, 4, v57
	v_mul_lo_u16_e32 v1, 17, v58
	s_mov_b32 s17, 0xf0f1
	s_waitcnt lgkmcnt(0)
	s_barrier
	global_load_dwordx4 v[12:15], v0, s[14:15]
	v_sub_u16_e32 v0, v84, v1
	v_mul_u32_u24_sdwa v1, v82, s17 dst_sel:DWORD dst_unused:UNUSED_PAD src0_sel:WORD_0 src1_sel:DWORD
	v_lshrrev_b32_e32 v60, 20, v1
	v_mul_lo_u16_e32 v1, 17, v60
	v_sub_u16_e32 v61, v82, v1
	v_and_b32_e32 v59, 0xff, v0
	v_lshlrev_b16_e32 v1, 1, v61
	v_lshlrev_b32_e32 v0, 4, v59
	v_lshlrev_b32_e32 v1, 3, v1
	s_mov_b64 s[4:5], vcc
	global_load_dwordx4 v[8:11], v0, s[14:15]
	global_load_dwordx4 v[16:19], v1, s[14:15]
	v_add_co_u32_e32 v0, vcc, 0x132, v124
	v_mul_u32_u24_sdwa v1, v0, s17 dst_sel:DWORD dst_unused:UNUSED_PAD src0_sel:WORD_0 src1_sel:DWORD
	v_lshrrev_b32_e32 v62, 20, v1
	v_mul_lo_u16_e32 v1, 17, v62
	v_sub_u16_e32 v63, v0, v1
	v_lshlrev_b16_e32 v0, 1, v63
	s_movk_i32 s16, 0x198
	v_lshlrev_b32_e32 v0, 3, v0
	global_load_dwordx4 v[20:23], v0, s[14:15]
	v_add_co_u32_e32 v0, vcc, s16, v124
	v_mul_u32_u24_sdwa v1, v0, s17 dst_sel:DWORD dst_unused:UNUSED_PAD src0_sel:WORD_0 src1_sel:DWORD
	v_lshrrev_b32_e32 v64, 20, v1
	v_mul_lo_u16_e32 v1, 17, v64
	v_sub_u16_e32 v65, v0, v1
	v_lshlrev_b16_e32 v0, 1, v65
	v_lshlrev_b32_e32 v0, 3, v0
	global_load_dwordx4 v[24:27], v0, s[14:15]
	v_mov_b32_e32 v0, 3
	v_lshlrev_b32_sdwa v125, v0, v124 dst_sel:DWORD dst_unused:UNUSED_PAD src0_sel:DWORD src1_sel:WORD_0
	v_add_u32_e32 v4, 0x800, v125
	v_add_u32_e32 v28, 0x1000, v125
	;; [unrolled: 1-line block ×3, first 2 shown]
	ds_read2_b64 v[0:3], v125 offset1:102
	v_add_u32_e32 v72, 0x1c00, v125
	v_add_u32_e32 v66, 0x400, v125
	;; [unrolled: 1-line block ×3, first 2 shown]
	ds_read_b64 v[46:47], v125 offset:11424
	ds_read2_b64 v[52:55], v4 offset0:152 offset1:254
	ds_read2_b64 v[4:7], v72 offset0:124 offset1:226
	;; [unrolled: 1-line block ×6, first 2 shown]
	s_waitcnt vmcnt(0) lgkmcnt(0)
	s_barrier
	v_mul_f32_e32 v50, v5, v15
	v_mul_f32_e32 v49, v54, v13
	;; [unrolled: 1-line block ×3, first 2 shown]
	v_fma_f32 v50, v4, v14, -v50
	v_mul_f32_e32 v48, v55, v13
	v_fmac_f32_e32 v49, v55, v12
	v_fma_f32 v48, v54, v12, -v48
	v_fmac_f32_e32 v51, v5, v14
	v_mul_f32_e32 v69, v7, v11
	v_mul_f32_e32 v4, v31, v17
	v_fma_f32 v55, v6, v10, -v69
	v_fma_f32 v69, v30, v16, -v4
	v_mul_f32_e32 v5, v37, v19
	v_fma_f32 v71, v36, v18, -v5
	v_add_f32_e32 v5, v48, v50
	v_mul_f32_e32 v70, v6, v11
	v_mul_f32_e32 v67, v29, v9
	v_fmac_f32_e32 v70, v7, v10
	v_add_f32_e32 v7, v49, v51
	v_mul_f32_e32 v4, v41, v21
	v_fma_f32 v74, v40, v20, -v4
	v_mul_f32_e32 v4, v39, v23
	v_fma_f32 v77, v38, v22, -v4
	;; [unrolled: 2-line block ×3, first 2 shown]
	v_fmac_f32_e32 v68, v29, v8
	v_sub_f32_e32 v28, v48, v50
	v_add_f32_e32 v29, v54, v55
	v_mul_f32_e32 v4, v43, v25
	v_fma_f32 v79, v42, v24, -v4
	v_mul_f32_e32 v4, v47, v27
	v_fma_f32 v85, v46, v26, -v4
	v_add_f32_e32 v4, v0, v48
	v_fma_f32 v0, -0.5, v5, v0
	v_sub_f32_e32 v5, v49, v51
	v_mov_b32_e32 v6, v0
	v_fmac_f32_e32 v6, 0x3f5db3d7, v5
	v_fmac_f32_e32 v0, 0xbf5db3d7, v5
	v_add_f32_e32 v5, v1, v49
	v_fma_f32 v1, -0.5, v7, v1
	v_mov_b32_e32 v7, v1
	v_mul_f32_e32 v67, v30, v17
	v_fmac_f32_e32 v7, 0xbf5db3d7, v28
	v_fmac_f32_e32 v1, 0x3f5db3d7, v28
	v_add_f32_e32 v28, v2, v54
	v_fma_f32 v2, -0.5, v29, v2
	v_fmac_f32_e32 v67, v31, v16
	v_sub_f32_e32 v29, v68, v70
	v_mov_b32_e32 v30, v2
	v_add_f32_e32 v31, v68, v70
	v_mul_f32_e32 v73, v36, v19
	v_fmac_f32_e32 v30, 0x3f5db3d7, v29
	v_fmac_f32_e32 v2, 0xbf5db3d7, v29
	v_add_f32_e32 v29, v3, v68
	v_fmac_f32_e32 v3, -0.5, v31
	v_fmac_f32_e32 v73, v37, v18
	v_sub_f32_e32 v36, v54, v55
	v_mov_b32_e32 v31, v3
	v_add_f32_e32 v37, v69, v71
	v_mul_f32_e32 v78, v38, v23
	v_fmac_f32_e32 v31, 0xbf5db3d7, v36
	v_fmac_f32_e32 v3, 0x3f5db3d7, v36
	v_add_f32_e32 v36, v32, v69
	v_fma_f32 v32, -0.5, v37, v32
	v_fmac_f32_e32 v78, v39, v22
	v_sub_f32_e32 v37, v67, v73
	v_mov_b32_e32 v38, v32
	v_add_f32_e32 v39, v67, v73
	v_mul_f32_e32 v75, v40, v21
	v_fmac_f32_e32 v38, 0x3f5db3d7, v37
	v_fmac_f32_e32 v32, 0xbf5db3d7, v37
	v_add_f32_e32 v37, v33, v67
	v_fma_f32 v33, -0.5, v39, v33
	;; [unrolled: 9-line block ×3, first 2 shown]
	v_fmac_f32_e32 v83, v43, v24
	v_sub_f32_e32 v41, v75, v78
	v_mov_b32_e32 v42, v34
	v_add_f32_e32 v43, v75, v78
	v_mul_f32_e32 v46, v46, v27
	v_fmac_f32_e32 v42, 0x3f5db3d7, v41
	v_fmac_f32_e32 v34, 0xbf5db3d7, v41
	v_add_f32_e32 v41, v35, v75
	v_fmac_f32_e32 v35, -0.5, v43
	v_fmac_f32_e32 v46, v47, v26
	v_sub_f32_e32 v47, v74, v77
	v_mov_b32_e32 v43, v35
	v_fmac_f32_e32 v43, 0xbf5db3d7, v47
	v_fmac_f32_e32 v35, 0x3f5db3d7, v47
	v_add_f32_e32 v47, v52, v79
	v_add_f32_e32 v48, v47, v85
	;; [unrolled: 1-line block ×3, first 2 shown]
	v_fma_f32 v52, -0.5, v47, v52
	v_add_f32_e32 v4, v4, v50
	v_sub_f32_e32 v47, v83, v46
	v_mov_b32_e32 v50, v52
	v_fmac_f32_e32 v50, 0x3f5db3d7, v47
	v_fmac_f32_e32 v52, 0xbf5db3d7, v47
	v_add_f32_e32 v47, v53, v83
	v_add_f32_e32 v49, v47, v46
	;; [unrolled: 1-line block ×3, first 2 shown]
	v_fmac_f32_e32 v53, -0.5, v46
	v_add_f32_e32 v5, v5, v51
	v_sub_f32_e32 v46, v79, v85
	v_mov_b32_e32 v51, v53
	v_fmac_f32_e32 v51, 0xbf5db3d7, v46
	v_fmac_f32_e32 v53, 0x3f5db3d7, v46
	v_mul_u32_u24_e32 v46, 51, v56
	v_add_lshl_u32 v126, v46, v57, 3
	ds_write2_b64 v126, v[4:5], v[6:7] offset1:17
	ds_write_b64 v126, v[0:1] offset:272
	v_mul_u32_u24_e32 v0, 51, v58
	v_add_lshl_u32 v128, v0, v59, 3
	v_mad_legacy_u16 v0, v60, 51, v61
	v_lshlrev_b32_e32 v129, 3, v0
	v_mad_legacy_u16 v0, v62, 51, v63
	v_lshlrev_b32_e32 v130, 3, v0
	v_mad_legacy_u16 v0, v64, 51, v65
	v_add_f32_e32 v28, v28, v55
	v_add_f32_e32 v29, v29, v70
	;; [unrolled: 1-line block ×6, first 2 shown]
	v_lshlrev_b32_e32 v131, 3, v0
	v_add_u32_e32 v0, 0xc00, v125
	ds_write2_b64 v128, v[28:29], v[30:31] offset1:17
	ds_write_b64 v128, v[2:3] offset:272
	ds_write2_b64 v129, v[36:37], v[38:39] offset1:17
	ds_write_b64 v129, v[32:33] offset:272
	;; [unrolled: 2-line block ×4, first 2 shown]
	s_waitcnt lgkmcnt(0)
	s_barrier
	ds_read2_b64 v[56:59], v125 offset1:102
	ds_read2_b64 v[60:63], v66 offset0:127 offset1:229
	ds_read2_b64 v[64:67], v0 offset0:126 offset1:228
	v_add_u32_e32 v0, 0x1400, v125
	ds_read2_b64 v[68:71], v0 offset0:125 offset1:227
	ds_read2_b64 v[72:75], v72 offset0:124 offset1:226
	;; [unrolled: 1-line block ×3, first 2 shown]
	v_addc_co_u32_e64 v85, s[2:3], 0, 0, s[2:3]
	v_addc_co_u32_e64 v83, s[2:3], 0, 0, s[4:5]
	v_cmp_gt_u16_e64 s[2:3], 51, v124
	s_and_saveexec_b64 s[4:5], s[2:3]
	s_cbranch_execz .LBB0_9
; %bb.8:
	v_add_u32_e32 v0, 0x660, v125
	ds_read2_b64 v[48:51], v0 offset1:255
	v_add_u32_e32 v0, 0x1650, v125
	ds_read2_b64 v[52:55], v0 offset1:255
	;; [unrolled: 2-line block ×3, first 2 shown]
	s_waitcnt lgkmcnt(1)
	v_mov_b32_e32 v80, v54
	v_mov_b32_e32 v81, v55
.LBB0_9:
	s_or_b64 exec, exec, s[4:5]
	v_subrev_u32_e32 v0, 51, v124
	v_cndmask_b32_e64 v88, v0, v124, s[2:3]
	v_mul_i32_i24_e32 v0, 40, v88
	v_mul_hi_i32_i24_e32 v1, 40, v88
	v_mov_b32_e32 v2, s15
	v_add_co_u32_e32 v0, vcc, s14, v0
	v_addc_co_u32_e32 v1, vcc, v2, v1, vcc
	s_mov_b32 s4, 0xa0a1
	global_load_dwordx4 v[32:35], v[0:1], off offset:272
	global_load_dwordx4 v[28:31], v[0:1], off offset:288
	global_load_dwordx2 v[111:112], v[0:1], off offset:304
	v_mul_u32_u24_sdwa v0, v82, s4 dst_sel:DWORD dst_unused:UNUSED_PAD src0_sel:WORD_0 src1_sel:DWORD
	s_movk_i32 s4, 0xa1
	v_mul_lo_u16_sdwa v36, v84, s4 dst_sel:DWORD dst_unused:UNUSED_PAD src0_sel:BYTE_0 src1_sel:DWORD
	v_lshrrev_b32_e32 v0, 21, v0
	v_lshrrev_b16_e32 v90, 13, v36
	v_mul_lo_u16_e32 v0, 51, v0
	v_mul_lo_u16_e32 v36, 51, v90
	v_sub_u16_e32 v89, v82, v0
	v_sub_u16_e32 v36, v84, v36
	v_mul_lo_u16_e32 v0, 40, v89
	v_and_b32_e32 v91, 0xff, v36
	v_add_co_u32_e32 v54, vcc, s14, v0
	v_mad_u64_u32 v[86:87], s[4:5], v91, 40, s[14:15]
	v_addc_co_u32_e32 v55, vcc, 0, v2, vcc
	global_load_dwordx4 v[0:3], v[54:55], off offset:272
	global_load_dwordx4 v[4:7], v[54:55], off offset:288
	;; [unrolled: 1-line block ×4, first 2 shown]
	global_load_dwordx2 v[113:114], v[86:87], off offset:304
	global_load_dwordx2 v[109:110], v[54:55], off offset:304
	v_cmp_lt_u16_e32 vcc, 50, v124
	s_waitcnt vmcnt(0) lgkmcnt(0)
	s_barrier
	v_lshlrev_b32_e32 v132, 3, v89
	v_mul_f32_e32 v54, v61, v33
	v_mul_f32_e32 v55, v60, v33
	;; [unrolled: 1-line block ×9, first 2 shown]
	v_fma_f32 v54, v60, v32, -v54
	v_fmac_f32_e32 v55, v61, v32
	v_fma_f32 v60, v64, v34, -v86
	v_fma_f32 v61, v68, v28, -v92
	v_fmac_f32_e32 v93, v69, v28
	v_fma_f32 v64, v72, v30, -v94
	v_mul_f32_e32 v97, v76, v112
	v_fmac_f32_e32 v87, v65, v34
	v_fmac_f32_e32 v95, v73, v30
	v_fma_f32 v65, v76, v111, -v96
	v_mul_f32_e32 v68, v51, v1
	v_mul_f32_e32 v69, v53, v3
	;; [unrolled: 1-line block ×7, first 2 shown]
	v_fma_f32 v99, v50, v0, -v68
	v_fma_f32 v50, v52, v2, -v69
	;; [unrolled: 1-line block ×3, first 2 shown]
	v_mul_f32_e32 v80, v78, v114
	v_fmac_f32_e32 v97, v77, v111
	v_mul_f32_e32 v98, v44, v7
	v_fmac_f32_e32 v92, v51, v0
	v_fma_f32 v51, v44, v6, -v73
	v_mul_f32_e32 v44, v63, v41
	v_mul_f32_e32 v77, v79, v114
	v_fmac_f32_e32 v80, v79, v113
	v_mul_f32_e32 v79, v46, v110
	v_fmac_f32_e32 v98, v45, v6
	v_mul_f32_e32 v45, v62, v41
	v_fma_f32 v44, v62, v40, -v44
	v_mul_f32_e32 v62, v47, v110
	v_fmac_f32_e32 v79, v47, v109
	v_add_f32_e32 v47, v60, v64
	v_fmac_f32_e32 v94, v53, v2
	v_mul_f32_e32 v53, v67, v43
	v_mul_f32_e32 v73, v70, v37
	v_mul_f32_e32 v69, v75, v39
	v_fma_f32 v47, -0.5, v47, v56
	v_mul_f32_e32 v72, v66, v43
	v_mul_f32_e32 v68, v71, v37
	;; [unrolled: 1-line block ×3, first 2 shown]
	v_fma_f32 v53, v66, v42, -v53
	v_fmac_f32_e32 v73, v71, v36
	v_fma_f32 v71, v74, v38, -v69
	v_fma_f32 v74, v78, v113, -v77
	;; [unrolled: 1-line block ×3, first 2 shown]
	v_add_f32_e32 v46, v56, v60
	v_sub_f32_e32 v56, v87, v95
	v_mov_b32_e32 v66, v47
	v_fmac_f32_e32 v66, 0x3f5db3d7, v56
	v_fmac_f32_e32 v47, 0xbf5db3d7, v56
	v_add_f32_e32 v56, v57, v87
	v_fmac_f32_e32 v72, v67, v42
	v_add_f32_e32 v67, v56, v95
	v_add_f32_e32 v56, v87, v95
	v_fma_f32 v69, -0.5, v56, v57
	v_fmac_f32_e32 v76, v75, v38
	v_sub_f32_e32 v56, v60, v64
	v_mov_b32_e32 v75, v69
	v_fmac_f32_e32 v75, 0xbf5db3d7, v56
	v_fmac_f32_e32 v69, 0x3f5db3d7, v56
	v_add_f32_e32 v56, v54, v61
	v_add_f32_e32 v46, v46, v64
	;; [unrolled: 1-line block ×4, first 2 shown]
	v_fmac_f32_e32 v54, -0.5, v56
	v_fmac_f32_e32 v45, v63, v40
	v_sub_f32_e32 v56, v93, v97
	v_mov_b32_e32 v63, v54
	v_fmac_f32_e32 v63, 0x3f5db3d7, v56
	v_fmac_f32_e32 v54, 0xbf5db3d7, v56
	v_add_f32_e32 v56, v55, v93
	v_add_f32_e32 v77, v56, v97
	;; [unrolled: 1-line block ×3, first 2 shown]
	v_fmac_f32_e32 v55, -0.5, v56
	v_sub_f32_e32 v56, v61, v65
	v_fma_f32 v70, v70, v36, -v68
	v_mov_b32_e32 v61, v55
	v_fmac_f32_e32 v55, 0x3f5db3d7, v56
	v_mul_f32_e32 v68, -0.5, v54
	v_fmac_f32_e32 v68, 0x3f5db3d7, v55
	v_fmac_f32_e32 v61, 0xbf5db3d7, v56
	v_add_f32_e32 v62, v47, v68
	v_mul_f32_e32 v55, -0.5, v55
	v_sub_f32_e32 v68, v47, v68
	v_add_f32_e32 v47, v53, v71
	v_mul_f32_e32 v65, 0x3f5db3d7, v61
	v_fmac_f32_e32 v55, 0xbf5db3d7, v54
	v_fma_f32 v47, -0.5, v47, v58
	v_fmac_f32_e32 v96, v81, v4
	v_add_f32_e32 v56, v46, v64
	v_fmac_f32_e32 v65, 0.5, v63
	v_mul_f32_e32 v81, 0xbf5db3d7, v63
	v_add_f32_e32 v63, v69, v55
	v_sub_f32_e32 v64, v46, v64
	v_sub_f32_e32 v69, v69, v55
	v_add_f32_e32 v46, v58, v53
	v_sub_f32_e32 v54, v72, v76
	v_mov_b32_e32 v55, v47
	v_add_f32_e32 v58, v72, v76
	v_fmac_f32_e32 v55, 0x3f5db3d7, v54
	v_fmac_f32_e32 v47, 0xbf5db3d7, v54
	v_add_f32_e32 v54, v59, v72
	v_fmac_f32_e32 v59, -0.5, v58
	v_add_f32_e32 v46, v46, v71
	v_sub_f32_e32 v53, v53, v71
	v_mov_b32_e32 v71, v59
	v_add_f32_e32 v58, v70, v74
	v_fmac_f32_e32 v81, 0.5, v61
	v_fmac_f32_e32 v71, 0xbf5db3d7, v53
	v_fmac_f32_e32 v59, 0x3f5db3d7, v53
	v_add_f32_e32 v53, v44, v70
	v_fmac_f32_e32 v44, -0.5, v58
	v_add_f32_e32 v60, v66, v65
	v_add_f32_e32 v57, v67, v77
	;; [unrolled: 1-line block ×3, first 2 shown]
	v_sub_f32_e32 v66, v66, v65
	v_sub_f32_e32 v65, v67, v77
	;; [unrolled: 1-line block ×4, first 2 shown]
	v_mov_b32_e32 v75, v44
	v_fmac_f32_e32 v75, 0x3f5db3d7, v58
	v_fmac_f32_e32 v44, 0xbf5db3d7, v58
	v_add_f32_e32 v58, v45, v73
	v_add_f32_e32 v81, v58, v80
	v_add_f32_e32 v58, v73, v80
	v_fmac_f32_e32 v45, -0.5, v58
	v_sub_f32_e32 v58, v70, v74
	v_mov_b32_e32 v70, v45
	v_fmac_f32_e32 v45, 0x3f5db3d7, v58
	v_mul_f32_e32 v87, -0.5, v44
	v_fmac_f32_e32 v87, 0x3f5db3d7, v45
	v_mul_f32_e32 v45, -0.5, v45
	v_fmac_f32_e32 v70, 0xbf5db3d7, v58
	v_fmac_f32_e32 v45, 0xbf5db3d7, v44
	v_mul_f32_e32 v58, 0x3f5db3d7, v70
	v_add_f32_e32 v77, v59, v45
	v_sub_f32_e32 v59, v59, v45
	v_add_f32_e32 v45, v50, v51
	v_add_f32_e32 v53, v53, v74
	v_fmac_f32_e32 v58, 0.5, v75
	v_add_f32_e32 v44, v48, v50
	v_fmac_f32_e32 v48, -0.5, v45
	v_add_f32_e32 v54, v54, v76
	v_add_f32_e32 v72, v46, v53
	v_add_f32_e32 v74, v55, v58
	v_add_f32_e32 v76, v47, v87
	v_sub_f32_e32 v80, v46, v53
	v_sub_f32_e32 v86, v55, v58
	;; [unrolled: 1-line block ×4, first 2 shown]
	v_mov_b32_e32 v45, v48
	v_add_f32_e32 v47, v94, v98
	v_fmac_f32_e32 v45, 0x3f5db3d7, v46
	v_fmac_f32_e32 v48, 0xbf5db3d7, v46
	v_add_f32_e32 v46, v49, v94
	v_fmac_f32_e32 v49, -0.5, v47
	v_add_f32_e32 v44, v44, v51
	v_sub_f32_e32 v50, v50, v51
	v_mov_b32_e32 v47, v49
	v_add_f32_e32 v51, v52, v78
	v_fmac_f32_e32 v47, 0xbf5db3d7, v50
	v_fmac_f32_e32 v49, 0x3f5db3d7, v50
	v_add_f32_e32 v50, v99, v52
	v_fmac_f32_e32 v99, -0.5, v51
	v_add_f32_e32 v73, v54, v81
	v_sub_f32_e32 v81, v54, v81
	v_sub_f32_e32 v51, v96, v79
	v_mov_b32_e32 v54, v99
	v_add_f32_e32 v53, v96, v79
	v_fmac_f32_e32 v54, 0x3f5db3d7, v51
	v_fmac_f32_e32 v99, 0xbf5db3d7, v51
	v_add_f32_e32 v51, v92, v96
	v_fmac_f32_e32 v92, -0.5, v53
	v_sub_f32_e32 v52, v52, v78
	v_mov_b32_e32 v55, v92
	v_fmac_f32_e32 v55, 0xbf5db3d7, v52
	v_fmac_f32_e32 v92, 0x3f5db3d7, v52
	v_mul_f32_e32 v52, 0x3f5db3d7, v55
	v_fmac_f32_e32 v52, 0.5, v54
	v_mul_f32_e32 v53, -0.5, v99
	v_mul_f32_e32 v54, 0xbf5db3d7, v54
	v_fmac_f32_e32 v53, 0x3f5db3d7, v92
	v_fmac_f32_e32 v54, 0.5, v55
	v_mul_f32_e32 v55, -0.5, v92
	v_mov_b32_e32 v92, 0x132
	v_cndmask_b32_e32 v92, 0, v92, vcc
	v_mul_f32_e32 v93, 0xbf5db3d7, v75
	v_add_lshl_u32 v133, v88, v92, 3
	v_fmac_f32_e32 v93, 0.5, v70
	v_add_f32_e32 v46, v46, v98
	v_add_f32_e32 v50, v50, v78
	v_add_f32_e32 v51, v51, v79
	v_fmac_f32_e32 v55, 0xbf5db3d7, v99
	ds_write2_b64 v133, v[56:57], v[60:61] offset1:51
	ds_write2_b64 v133, v[62:63], v[64:65] offset0:102 offset1:153
	ds_write2_b64 v133, v[66:67], v[68:69] offset0:204 offset1:255
	v_mul_u32_u24_e32 v56, 0x132, v90
	v_add_f32_e32 v75, v71, v93
	v_sub_f32_e32 v87, v71, v93
	v_sub_f32_e32 v78, v44, v50
	;; [unrolled: 1-line block ×7, first 2 shown]
	v_add_lshl_u32 v198, v56, v91, 3
	ds_write2_b64 v198, v[72:73], v[74:75] offset1:51
	ds_write2_b64 v198, v[76:77], v[80:81] offset0:102 offset1:153
	ds_write2_b64 v198, v[86:87], v[58:59] offset0:204 offset1:255
	s_and_saveexec_b64 s[4:5], s[2:3]
	s_cbranch_execz .LBB0_11
; %bb.10:
	v_add_f32_e32 v47, v47, v54
	v_add_f32_e32 v51, v46, v51
	v_add_f32_e32 v46, v45, v52
	v_add_f32_e32 v50, v44, v50
	v_add_u32_e32 v44, 0x2000, v132
	v_add_f32_e32 v49, v49, v55
	v_add_f32_e32 v48, v48, v53
	ds_write2_b64 v44, v[50:51], v[46:47] offset0:200 offset1:251
	v_add_u32_e32 v44, 0x2800, v132
	ds_write2_b64 v44, v[48:49], v[78:79] offset0:46 offset1:97
	ds_write2_b64 v44, v[115:116], v[70:71] offset0:148 offset1:199
.LBB0_11:
	s_or_b64 exec, exec, s[4:5]
	v_lshlrev_b32_e32 v52, 5, v124
	s_waitcnt lgkmcnt(0)
	s_barrier
	global_load_dwordx4 v[48:51], v52, s[14:15] offset:2312
	global_load_dwordx4 v[44:47], v52, s[14:15] offset:2328
	v_lshlrev_b64 v[52:53], 5, v[84:85]
	v_mov_b32_e32 v62, s15
	v_add_co_u32_e32 v60, vcc, s14, v52
	v_addc_co_u32_e32 v61, vcc, v62, v53, vcc
	global_load_dwordx4 v[56:59], v[60:61], off offset:2312
	global_load_dwordx4 v[52:55], v[60:61], off offset:2328
	v_lshlrev_b64 v[60:61], 5, v[82:83]
	v_add_u32_e32 v106, 0x400, v125
	v_add_co_u32_e32 v68, vcc, s14, v60
	v_addc_co_u32_e32 v69, vcc, v62, v61, vcc
	global_load_dwordx4 v[64:67], v[68:69], off offset:2312
	global_load_dwordx4 v[60:63], v[68:69], off offset:2328
	ds_read2_b64 v[84:87], v125 offset1:102
	v_add_u32_e32 v107, 0x1000, v125
	v_add_u32_e32 v117, 0x1800, v125
	;; [unrolled: 1-line block ×5, first 2 shown]
	ds_read_b64 v[68:69], v125 offset:11424
	ds_read2_b64 v[80:83], v106 offset0:76 offset1:178
	ds_read2_b64 v[72:75], v107 offset0:100 offset1:202
	;; [unrolled: 1-line block ×6, first 2 shown]
	s_waitcnt vmcnt(5) lgkmcnt(5)
	v_mul_f32_e32 v76, v83, v49
	s_waitcnt lgkmcnt(4)
	v_mul_f32_e32 v104, v73, v51
	v_fma_f32 v76, v82, v48, -v76
	s_waitcnt vmcnt(4) lgkmcnt(3)
	v_mul_f32_e32 v121, v91, v45
	v_fma_f32 v104, v72, v50, -v104
	v_add_f32_e32 v144, v84, v76
	v_mul_f32_e32 v122, v90, v45
	s_waitcnt lgkmcnt(2)
	v_mul_f32_e32 v134, v93, v47
	v_fma_f32 v121, v90, v44, -v121
	v_mul_f32_e32 v105, v72, v51
	v_fmac_f32_e32 v122, v91, v44
	v_fma_f32 v91, v92, v46, -v134
	s_waitcnt vmcnt(3) lgkmcnt(1)
	v_mul_f32_e32 v72, v97, v57
	v_mul_f32_e32 v77, v82, v49
	;; [unrolled: 1-line block ×3, first 2 shown]
	s_waitcnt vmcnt(0)
	v_mul_f32_e32 v143, v68, v63
	v_mul_f32_e32 v142, v69, v63
	v_fmac_f32_e32 v143, v69, v62
	v_add_f32_e32 v69, v144, v104
	v_add_f32_e32 v69, v69, v121
	v_mul_f32_e32 v134, v96, v57
	s_waitcnt lgkmcnt(0)
	v_mul_f32_e32 v82, v101, v53
	v_fma_f32 v96, v96, v56, -v72
	v_add_f32_e32 v72, v69, v91
	v_add_f32_e32 v69, v104, v121
	v_fmac_f32_e32 v77, v83, v48
	v_fmac_f32_e32 v105, v73, v50
	;; [unrolled: 1-line block ×3, first 2 shown]
	v_mul_f32_e32 v73, v75, v59
	v_mul_f32_e32 v137, v100, v53
	v_fma_f32 v100, v100, v52, -v82
	v_fma_f32 v82, -0.5, v69, v84
	v_mul_f32_e32 v136, v74, v59
	v_mul_f32_e32 v83, v95, v55
	v_fmac_f32_e32 v134, v97, v56
	v_fma_f32 v97, v74, v58, -v73
	v_sub_f32_e32 v69, v77, v135
	v_mov_b32_e32 v74, v82
	v_fmac_f32_e32 v136, v75, v58
	v_fmac_f32_e32 v137, v101, v52
	v_fma_f32 v101, v94, v54, -v83
	v_fmac_f32_e32 v74, 0x3f737871, v69
	v_sub_f32_e32 v73, v105, v122
	v_sub_f32_e32 v75, v76, v104
	;; [unrolled: 1-line block ×3, first 2 shown]
	v_fmac_f32_e32 v82, 0xbf737871, v69
	v_fmac_f32_e32 v74, 0x3f167918, v73
	v_add_f32_e32 v75, v75, v83
	v_fmac_f32_e32 v82, 0xbf167918, v73
	v_mul_f32_e32 v90, v99, v65
	v_fmac_f32_e32 v74, 0x3e9e377a, v75
	v_fmac_f32_e32 v82, 0x3e9e377a, v75
	v_add_f32_e32 v75, v76, v91
	v_mul_f32_e32 v92, v89, v67
	v_fma_f32 v145, v98, v64, -v90
	v_fma_f32 v90, -0.5, v75, v84
	v_mul_f32_e32 v140, v88, v67
	v_fma_f32 v146, v88, v66, -v92
	v_mov_b32_e32 v88, v90
	v_fmac_f32_e32 v88, 0xbf737871, v73
	v_fmac_f32_e32 v90, 0x3f737871, v73
	;; [unrolled: 1-line block ×4, first 2 shown]
	v_add_f32_e32 v69, v85, v77
	v_add_f32_e32 v69, v69, v105
	;; [unrolled: 1-line block ×3, first 2 shown]
	v_sub_f32_e32 v75, v104, v76
	v_sub_f32_e32 v83, v121, v91
	v_add_f32_e32 v73, v69, v135
	v_add_f32_e32 v69, v105, v122
	;; [unrolled: 1-line block ×3, first 2 shown]
	v_fma_f32 v83, -0.5, v69, v85
	v_fmac_f32_e32 v88, 0x3e9e377a, v75
	v_fmac_f32_e32 v90, 0x3e9e377a, v75
	v_sub_f32_e32 v69, v76, v91
	v_mov_b32_e32 v75, v83
	v_fmac_f32_e32 v140, v89, v66
	v_fmac_f32_e32 v75, 0xbf737871, v69
	v_sub_f32_e32 v76, v104, v121
	v_sub_f32_e32 v84, v77, v105
	;; [unrolled: 1-line block ×3, first 2 shown]
	v_fmac_f32_e32 v83, 0x3f737871, v69
	v_fmac_f32_e32 v75, 0xbf167918, v76
	v_add_f32_e32 v84, v84, v89
	v_fmac_f32_e32 v83, 0x3f167918, v76
	v_fmac_f32_e32 v75, 0x3e9e377a, v84
	;; [unrolled: 1-line block ×3, first 2 shown]
	v_add_f32_e32 v84, v77, v135
	v_fma_f32 v91, -0.5, v84, v85
	v_mov_b32_e32 v89, v91
	v_fmac_f32_e32 v89, 0x3f737871, v76
	v_fmac_f32_e32 v91, 0xbf737871, v76
	;; [unrolled: 1-line block ×4, first 2 shown]
	v_add_f32_e32 v69, v86, v96
	v_add_f32_e32 v69, v69, v97
	v_sub_f32_e32 v77, v105, v77
	v_sub_f32_e32 v84, v122, v135
	v_add_f32_e32 v69, v69, v100
	v_mul_f32_e32 v138, v94, v55
	v_add_f32_e32 v77, v77, v84
	v_add_f32_e32 v84, v69, v101
	;; [unrolled: 1-line block ×3, first 2 shown]
	v_mul_f32_e32 v139, v98, v65
	v_fmac_f32_e32 v138, v95, v54
	v_fma_f32 v98, -0.5, v69, v86
	v_sub_f32_e32 v69, v134, v138
	v_mov_b32_e32 v92, v98
	v_fmac_f32_e32 v89, 0x3e9e377a, v77
	v_fmac_f32_e32 v91, 0x3e9e377a, v77
	;; [unrolled: 1-line block ×3, first 2 shown]
	v_sub_f32_e32 v76, v136, v137
	v_sub_f32_e32 v77, v96, v97
	;; [unrolled: 1-line block ×3, first 2 shown]
	v_fmac_f32_e32 v98, 0xbf737871, v69
	v_fmac_f32_e32 v92, 0x3f167918, v76
	v_add_f32_e32 v77, v77, v85
	v_fmac_f32_e32 v98, 0xbf167918, v76
	v_fmac_f32_e32 v92, 0x3e9e377a, v77
	;; [unrolled: 1-line block ×3, first 2 shown]
	v_add_f32_e32 v77, v96, v101
	v_fma_f32 v86, -0.5, v77, v86
	v_mov_b32_e32 v94, v86
	v_fmac_f32_e32 v94, 0xbf737871, v76
	v_fmac_f32_e32 v86, 0x3f737871, v76
	;; [unrolled: 1-line block ×4, first 2 shown]
	v_add_f32_e32 v69, v87, v134
	v_add_f32_e32 v69, v69, v136
	v_sub_f32_e32 v77, v97, v96
	v_sub_f32_e32 v85, v100, v101
	v_add_f32_e32 v69, v69, v137
	v_add_f32_e32 v77, v77, v85
	;; [unrolled: 1-line block ×4, first 2 shown]
	v_mul_f32_e32 v93, v103, v61
	v_fmac_f32_e32 v139, v99, v64
	v_fma_f32 v99, -0.5, v69, v87
	v_fma_f32 v147, v102, v60, -v93
	v_sub_f32_e32 v69, v96, v101
	v_mov_b32_e32 v93, v99
	v_fmac_f32_e32 v94, 0x3e9e377a, v77
	v_fmac_f32_e32 v86, 0x3e9e377a, v77
	;; [unrolled: 1-line block ×3, first 2 shown]
	v_sub_f32_e32 v76, v97, v100
	v_sub_f32_e32 v77, v134, v136
	;; [unrolled: 1-line block ×3, first 2 shown]
	v_fmac_f32_e32 v99, 0x3f737871, v69
	v_fmac_f32_e32 v93, 0xbf167918, v76
	v_add_f32_e32 v77, v77, v95
	v_fmac_f32_e32 v99, 0x3f167918, v76
	v_fmac_f32_e32 v93, 0x3e9e377a, v77
	;; [unrolled: 1-line block ×3, first 2 shown]
	v_add_f32_e32 v77, v134, v138
	v_fmac_f32_e32 v87, -0.5, v77
	v_mov_b32_e32 v95, v87
	v_fmac_f32_e32 v95, 0x3f737871, v76
	v_fmac_f32_e32 v87, 0xbf737871, v76
	;; [unrolled: 1-line block ×4, first 2 shown]
	v_add_f32_e32 v69, v80, v145
	v_add_f32_e32 v69, v69, v146
	v_fma_f32 v68, v68, v62, -v142
	v_add_f32_e32 v69, v69, v147
	v_add_f32_e32 v100, v69, v68
	;; [unrolled: 1-line block ×3, first 2 shown]
	v_mul_f32_e32 v141, v102, v61
	v_sub_f32_e32 v77, v136, v134
	v_sub_f32_e32 v96, v137, v138
	v_fma_f32 v76, -0.5, v69, v80
	v_fmac_f32_e32 v141, v103, v60
	v_add_f32_e32 v77, v77, v96
	v_sub_f32_e32 v69, v139, v143
	v_mov_b32_e32 v102, v76
	v_fmac_f32_e32 v95, 0x3e9e377a, v77
	v_fmac_f32_e32 v87, 0x3e9e377a, v77
	;; [unrolled: 1-line block ×3, first 2 shown]
	v_sub_f32_e32 v77, v140, v141
	v_sub_f32_e32 v96, v145, v146
	;; [unrolled: 1-line block ×3, first 2 shown]
	v_fmac_f32_e32 v76, 0xbf737871, v69
	v_fmac_f32_e32 v102, 0x3f167918, v77
	v_add_f32_e32 v96, v96, v97
	v_fmac_f32_e32 v76, 0xbf167918, v77
	v_fmac_f32_e32 v102, 0x3e9e377a, v96
	;; [unrolled: 1-line block ×3, first 2 shown]
	v_add_f32_e32 v96, v145, v68
	v_fma_f32 v80, -0.5, v96, v80
	v_mov_b32_e32 v104, v80
	v_fmac_f32_e32 v104, 0xbf737871, v77
	v_fmac_f32_e32 v80, 0x3f737871, v77
	;; [unrolled: 1-line block ×4, first 2 shown]
	v_add_f32_e32 v69, v81, v139
	v_add_f32_e32 v69, v69, v140
	;; [unrolled: 1-line block ×5, first 2 shown]
	v_sub_f32_e32 v96, v146, v145
	v_sub_f32_e32 v97, v147, v68
	v_fma_f32 v77, -0.5, v69, v81
	v_add_f32_e32 v96, v96, v97
	v_sub_f32_e32 v68, v145, v68
	v_mov_b32_e32 v103, v77
	v_fmac_f32_e32 v104, 0x3e9e377a, v96
	v_fmac_f32_e32 v80, 0x3e9e377a, v96
	;; [unrolled: 1-line block ×3, first 2 shown]
	v_sub_f32_e32 v69, v146, v147
	v_sub_f32_e32 v96, v139, v140
	;; [unrolled: 1-line block ×3, first 2 shown]
	v_fmac_f32_e32 v77, 0x3f737871, v68
	v_fmac_f32_e32 v103, 0xbf167918, v69
	v_add_f32_e32 v96, v96, v97
	v_fmac_f32_e32 v77, 0x3f167918, v69
	v_fmac_f32_e32 v103, 0x3e9e377a, v96
	;; [unrolled: 1-line block ×3, first 2 shown]
	v_add_f32_e32 v96, v139, v143
	v_fmac_f32_e32 v81, -0.5, v96
	v_mov_b32_e32 v105, v81
	v_fmac_f32_e32 v105, 0x3f737871, v69
	v_sub_f32_e32 v96, v140, v139
	v_sub_f32_e32 v97, v141, v143
	v_fmac_f32_e32 v81, 0xbf737871, v69
	v_fmac_f32_e32 v105, 0xbf167918, v68
	v_add_f32_e32 v96, v96, v97
	v_fmac_f32_e32 v81, 0x3f167918, v68
	v_fmac_f32_e32 v105, 0x3e9e377a, v96
	;; [unrolled: 1-line block ×3, first 2 shown]
	ds_write2_b64 v125, v[72:73], v[84:85] offset1:102
	ds_write2_b64 v107, v[88:89], v[94:95] offset0:100 offset1:202
	ds_write2_b64 v118, v[82:83], v[98:99] offset0:72 offset1:174
	ds_write2_b64 v106, v[100:101], v[74:75] offset0:76 offset1:178
	ds_write2_b64 v119, v[92:93], v[102:103] offset0:152 offset1:254
	ds_write2_b64 v117, v[104:105], v[90:91] offset0:48 offset1:150
	ds_write2_b64 v120, v[86:87], v[80:81] offset0:124 offset1:226
	ds_write_b64 v125, v[76:77] offset:11424
	s_waitcnt lgkmcnt(0)
	s_barrier
	s_and_saveexec_b64 s[4:5], s[0:1]
	s_cbranch_execz .LBB0_13
; %bb.12:
	v_mov_b32_e32 v68, s7
	v_add_co_u32_e32 v119, vcc, s6, v123
	v_addc_co_u32_e32 v120, vcc, 0, v68, vcc
	v_add_co_u32_e32 v68, vcc, 0x2fd0, v119
	v_addc_co_u32_e32 v69, vcc, 0, v120, vcc
	;; [unrolled: 2-line block ×3, first 2 shown]
	global_load_dwordx2 v[96:97], v[96:97], off offset:4048
	s_nop 0
	global_load_dwordx2 v[106:107], v[68:69], off offset:720
	global_load_dwordx2 v[121:122], v[68:69], off offset:1440
	;; [unrolled: 1-line block ×4, first 2 shown]
	s_movk_i32 s14, 0x4000
	v_add_co_u32_e32 v117, vcc, s14, v119
	v_addc_co_u32_e32 v118, vcc, 0, v120, vcc
	global_load_dwordx2 v[154:155], v[117:118], off offset:176
	global_load_dwordx2 v[156:157], v[117:118], off offset:896
	s_nop 0
	global_load_dwordx2 v[68:69], v[68:69], off offset:3600
	s_nop 0
	global_load_dwordx2 v[158:159], v[117:118], off offset:1616
	global_load_dwordx2 v[160:161], v[117:118], off offset:2336
	;; [unrolled: 1-line block ×3, first 2 shown]
	s_movk_i32 s14, 0x5000
	global_load_dwordx2 v[164:165], v[117:118], off offset:3776
	v_add_co_u32_e32 v117, vcc, s14, v119
	v_addc_co_u32_e32 v118, vcc, 0, v120, vcc
	global_load_dwordx2 v[166:167], v[117:118], off offset:400
	global_load_dwordx2 v[168:169], v[117:118], off offset:1120
	;; [unrolled: 1-line block ×3, first 2 shown]
	ds_read_b64 v[119:120], v125
	global_load_dwordx2 v[172:173], v[117:118], off offset:2560
	global_load_dwordx2 v[174:175], v[117:118], off offset:3280
	v_add_u32_e32 v176, 0x800, v123
	v_add_u32_e32 v177, 0xc00, v123
	;; [unrolled: 1-line block ×4, first 2 shown]
	s_waitcnt vmcnt(16) lgkmcnt(0)
	v_mul_f32_e32 v117, v120, v97
	v_mul_f32_e32 v118, v119, v97
	v_fma_f32 v117, v119, v96, -v117
	v_fmac_f32_e32 v118, v120, v96
	ds_write_b64 v125, v[117:118]
	ds_read2_b64 v[117:120], v123 offset0:90 offset1:180
	ds_read2_b64 v[134:137], v176 offset0:14 offset1:104
	;; [unrolled: 1-line block ×5, first 2 shown]
	s_waitcnt vmcnt(15) lgkmcnt(4)
	v_mul_f32_e32 v96, v118, v107
	v_mul_f32_e32 v97, v117, v107
	s_waitcnt vmcnt(14)
	v_mul_f32_e32 v180, v120, v122
	v_mul_f32_e32 v107, v119, v122
	s_waitcnt vmcnt(13) lgkmcnt(3)
	v_mul_f32_e32 v181, v135, v151
	v_mul_f32_e32 v122, v134, v151
	s_waitcnt vmcnt(12)
	v_mul_f32_e32 v182, v137, v153
	v_mul_f32_e32 v151, v136, v153
	s_waitcnt vmcnt(9) lgkmcnt(2)
	v_mul_f32_e32 v183, v139, v69
	v_mul_f32_e32 v153, v138, v69
	;; [unrolled: 1-line block ×4, first 2 shown]
	s_waitcnt lgkmcnt(1)
	v_mul_f32_e32 v185, v143, v157
	v_mul_f32_e32 v155, v142, v157
	s_waitcnt vmcnt(8)
	v_mul_f32_e32 v186, v145, v159
	v_mul_f32_e32 v157, v144, v159
	v_fma_f32 v96, v117, v106, -v96
	v_fmac_f32_e32 v97, v118, v106
	v_fma_f32 v106, v119, v121, -v180
	v_fmac_f32_e32 v107, v120, v121
	;; [unrolled: 2-line block ×8, first 2 shown]
	ds_write2_b64 v123, v[96:97], v[106:107] offset0:90 offset1:180
	ds_write2_b64 v176, v[121:122], v[150:151] offset0:14 offset1:104
	;; [unrolled: 1-line block ×4, first 2 shown]
	v_add_u32_e32 v106, 0x1c00, v123
	ds_read2_b64 v[117:120], v106 offset0:94 offset1:184
	s_waitcnt vmcnt(7) lgkmcnt(5)
	v_mul_f32_e32 v159, v147, v161
	v_mul_f32_e32 v135, v146, v161
	s_waitcnt vmcnt(6)
	v_mul_f32_e32 v68, v149, v163
	v_mul_f32_e32 v69, v148, v163
	v_fma_f32 v134, v146, v160, -v159
	v_fmac_f32_e32 v135, v147, v160
	v_fma_f32 v68, v148, v162, -v68
	v_fmac_f32_e32 v69, v149, v162
	ds_write2_b64 v179, v[134:135], v[68:69] offset0:42 offset1:132
	s_waitcnt vmcnt(5) lgkmcnt(1)
	v_mul_f32_e32 v68, v118, v165
	v_mul_f32_e32 v69, v117, v165
	s_waitcnt vmcnt(4)
	v_mul_f32_e32 v96, v120, v167
	v_add_u32_e32 v107, 0x2000, v123
	v_mul_f32_e32 v97, v119, v167
	v_fma_f32 v68, v117, v164, -v68
	v_fmac_f32_e32 v69, v118, v164
	ds_read2_b64 v[134:137], v107 offset0:146 offset1:236
	v_fma_f32 v96, v119, v166, -v96
	v_fmac_f32_e32 v97, v120, v166
	ds_write2_b64 v106, v[68:69], v[96:97] offset0:94 offset1:184
	v_add_u32_e32 v106, 0x2800, v123
	ds_read2_b64 v[117:120], v106 offset0:70 offset1:160
	s_waitcnt vmcnt(3) lgkmcnt(2)
	v_mul_f32_e32 v68, v135, v169
	v_mul_f32_e32 v69, v134, v169
	s_waitcnt vmcnt(2)
	v_mul_f32_e32 v96, v137, v171
	v_mul_f32_e32 v97, v136, v171
	v_fma_f32 v68, v134, v168, -v68
	v_fmac_f32_e32 v69, v135, v168
	v_fma_f32 v96, v136, v170, -v96
	v_fmac_f32_e32 v97, v137, v170
	ds_write2_b64 v107, v[68:69], v[96:97] offset0:146 offset1:236
	s_waitcnt vmcnt(1) lgkmcnt(1)
	v_mul_f32_e32 v68, v118, v173
	v_mul_f32_e32 v69, v117, v173
	s_waitcnt vmcnt(0)
	v_mul_f32_e32 v96, v120, v175
	v_mul_f32_e32 v97, v119, v175
	v_fma_f32 v68, v117, v172, -v68
	v_fmac_f32_e32 v69, v118, v172
	v_fma_f32 v96, v119, v174, -v96
	v_fmac_f32_e32 v97, v120, v174
	ds_write2_b64 v106, v[68:69], v[96:97] offset0:70 offset1:160
.LBB0_13:
	s_or_b64 exec, exec, s[4:5]
	s_waitcnt lgkmcnt(0)
	s_barrier
	s_and_saveexec_b64 s[4:5], s[0:1]
	s_cbranch_execz .LBB0_15
; %bb.14:
	v_add_u32_e32 v68, 0x400, v125
	ds_read2_b64 v[88:91], v68 offset0:52 offset1:142
	v_add_u32_e32 v68, 0x800, v125
	ds_read2_b64 v[82:85], v68 offset0:104 offset1:194
	;; [unrolled: 2-line block ×4, first 2 shown]
	v_add_u32_e32 v68, 0x1800, v125
	v_add_u32_e32 v69, 0x2000, v125
	ds_read2_b64 v[72:75], v125 offset1:90
	ds_read2_b64 v[104:107], v69 offset0:56 offset1:146
	ds_read2_b64 v[100:103], v68 offset0:132 offset1:222
	v_add_u32_e32 v68, 0x2400, v125
	ds_read2_b64 v[76:79], v68 offset0:108 offset1:198
	ds_read_b64 v[115:116], v125 offset:11520
	s_waitcnt lgkmcnt(5)
	v_mov_b32_e32 v86, v96
	s_waitcnt lgkmcnt(3)
	v_mov_b32_e32 v80, v106
	v_mov_b32_e32 v81, v107
	;; [unrolled: 1-line block ×3, first 2 shown]
.LBB0_15:
	s_or_b64 exec, exec, s[4:5]
	s_waitcnt lgkmcnt(0)
	v_sub_f32_e32 v164, v75, v116
	v_add_f32_e32 v134, v115, v74
	v_add_f32_e32 v172, v116, v75
	s_mov_b32 s14, 0x3f6eb680
	v_mul_f32_e32 v150, 0xbeb8f4ab, v164
	v_sub_f32_e32 v169, v89, v79
	v_mul_f32_e32 v151, 0x3f6eb680, v172
	v_fma_f32 v68, v134, s14, -v150
	s_mov_b32 s15, 0x3f3d2fb0
	v_add_f32_e32 v135, v78, v88
	v_add_f32_e32 v178, v79, v89
	v_mul_f32_e32 v127, 0xbf2c7751, v169
	v_sub_f32_e32 v136, v74, v115
	v_add_f32_e32 v68, v72, v68
	v_mov_b32_e32 v69, v151
	v_mul_f32_e32 v153, 0x3f3d2fb0, v178
	v_fma_f32 v106, v135, s15, -v127
	v_fmac_f32_e32 v69, 0xbeb8f4ab, v136
	v_mul_f32_e32 v155, 0xbf2c7751, v164
	v_sub_f32_e32 v138, v88, v78
	v_add_f32_e32 v68, v106, v68
	v_mov_b32_e32 v106, v153
	v_add_f32_e32 v69, v73, v69
	v_mul_f32_e32 v158, 0x3f3d2fb0, v172
	v_fma_f32 v96, v134, s15, -v155
	v_fmac_f32_e32 v106, 0xbf2c7751, v138
	s_mov_b32 s16, 0x3dbcf732
	v_mul_f32_e32 v159, 0xbf7ee86f, v169
	v_add_f32_e32 v96, v72, v96
	v_mov_b32_e32 v97, v158
	v_add_f32_e32 v69, v106, v69
	v_mul_f32_e32 v162, 0x3dbcf732, v178
	v_fma_f32 v106, v135, s16, -v159
	v_fmac_f32_e32 v97, 0xbf2c7751, v136
	v_add_f32_e32 v96, v106, v96
	v_mov_b32_e32 v106, v162
	v_sub_f32_e32 v173, v91, v77
	v_add_f32_e32 v97, v73, v97
	v_fmac_f32_e32 v106, 0xbf7ee86f, v138
	v_add_f32_e32 v137, v76, v90
	v_add_f32_e32 v183, v77, v91
	s_mov_b32 s17, 0x3ee437d1
	v_mul_f32_e32 v154, 0xbf65296c, v173
	v_add_f32_e32 v97, v106, v97
	v_mul_f32_e32 v156, 0x3ee437d1, v183
	v_fma_f32 v106, v137, s17, -v154
	v_sub_f32_e32 v140, v90, v76
	v_add_f32_e32 v68, v106, v68
	v_mov_b32_e32 v106, v156
	v_fmac_f32_e32 v106, 0xbf65296c, v140
	s_mov_b32 s18, 0xbf1a4643
	v_mul_f32_e32 v163, 0xbf4c4adb, v173
	v_add_f32_e32 v69, v106, v69
	v_mul_f32_e32 v167, 0xbf1a4643, v183
	v_fma_f32 v106, v137, s18, -v163
	v_add_f32_e32 v96, v106, v96
	v_mov_b32_e32 v106, v167
	v_sub_f32_e32 v179, v83, v81
	v_fmac_f32_e32 v106, 0xbf4c4adb, v140
	v_add_f32_e32 v139, v80, v82
	v_add_f32_e32 v187, v81, v83
	v_mul_f32_e32 v157, 0xbf7ee86f, v179
	v_add_f32_e32 v97, v106, v97
	v_mul_f32_e32 v160, 0x3dbcf732, v187
	v_fma_f32 v106, v139, s16, -v157
	v_sub_f32_e32 v142, v82, v80
	v_add_f32_e32 v68, v106, v68
	v_mov_b32_e32 v106, v160
	v_fmac_f32_e32 v106, 0xbf7ee86f, v142
	s_mov_b32 s19, 0xbf7ba420
	v_mul_f32_e32 v168, 0xbe3c28d5, v179
	v_add_f32_e32 v69, v106, v69
	v_mul_f32_e32 v174, 0xbf7ba420, v187
	v_fma_f32 v106, v139, s19, -v168
	v_add_f32_e32 v96, v106, v96
	v_mov_b32_e32 v106, v174
	v_sub_f32_e32 v184, v85, v105
	v_fmac_f32_e32 v106, 0xbe3c28d5, v142
	v_add_f32_e32 v141, v104, v84
	v_add_f32_e32 v191, v105, v85
	s_mov_b32 s20, 0xbe8c1d8e
	v_mul_f32_e32 v161, 0xbf763a35, v184
	v_add_f32_e32 v97, v106, v97
	v_mul_f32_e32 v165, 0xbe8c1d8e, v191
	v_fma_f32 v106, v141, s20, -v161
	v_sub_f32_e32 v144, v84, v104
	v_add_f32_e32 v68, v106, v68
	v_mov_b32_e32 v106, v165
	v_fmac_f32_e32 v106, 0xbf763a35, v144
	s_mov_b32 s21, 0xbf59a7d5
	v_mul_f32_e32 v175, 0x3f06c442, v184
	v_add_f32_e32 v69, v106, v69
	v_mul_f32_e32 v181, 0xbf59a7d5, v191
	v_fma_f32 v106, v141, s21, -v175
	v_add_f32_e32 v96, v106, v96
	v_mov_b32_e32 v106, v181
	v_sub_f32_e32 v188, v93, v103
	v_fmac_f32_e32 v106, 0x3f06c442, v144
	v_add_f32_e32 v143, v102, v92
	v_add_f32_e32 v195, v103, v93
	v_mul_f32_e32 v166, 0xbf4c4adb, v188
	v_add_f32_e32 v97, v106, v97
	v_mul_f32_e32 v171, 0xbf1a4643, v195
	v_fma_f32 v106, v143, s18, -v166
	v_sub_f32_e32 v146, v92, v102
	v_add_f32_e32 v68, v106, v68
	v_mov_b32_e32 v106, v171
	v_fmac_f32_e32 v106, 0xbf4c4adb, v146
	v_mul_f32_e32 v180, 0x3f763a35, v188
	v_add_f32_e32 v69, v106, v69
	v_mul_f32_e32 v186, 0xbe8c1d8e, v195
	v_fma_f32 v106, v143, s20, -v180
	v_add_f32_e32 v96, v106, v96
	v_mov_b32_e32 v106, v186
	v_sub_f32_e32 v192, v95, v101
	v_fmac_f32_e32 v106, 0x3f763a35, v146
	v_add_f32_e32 v145, v100, v94
	v_add_f32_e32 v196, v101, v95
	v_mul_f32_e32 v170, 0xbf06c442, v192
	v_add_f32_e32 v97, v106, v97
	v_mul_f32_e32 v177, 0xbf59a7d5, v196
	v_fma_f32 v106, v145, s21, -v170
	v_sub_f32_e32 v148, v94, v100
	v_add_f32_e32 v68, v106, v68
	v_mov_b32_e32 v106, v177
	v_fmac_f32_e32 v106, 0xbf06c442, v148
	;; [unrolled: 18-line block ×3, first 2 shown]
	v_mul_f32_e32 v189, 0x3eb8f4ab, v194
	v_add_f32_e32 v69, v106, v69
	v_mul_f32_e32 v193, 0x3f6eb680, v197
	v_fma_f32 v106, v147, s14, -v189
	v_add_f32_e32 v96, v106, v96
	v_mov_b32_e32 v106, v193
	v_fmac_f32_e32 v106, 0x3eb8f4ab, v149
	v_add_f32_e32 v97, v106, v97
	s_barrier
	s_and_saveexec_b64 s[4:5], s[0:1]
	s_cbranch_execz .LBB0_17
; %bb.16:
	v_mul_f32_e32 v232, 0xbf7ba420, v172
	v_mov_b32_e32 v106, v232
	v_mul_f32_e32 v233, 0x3f6eb680, v178
	v_fmac_f32_e32 v106, 0x3e3c28d5, v136
	v_mov_b32_e32 v107, v233
	v_add_f32_e32 v106, v73, v106
	v_fmac_f32_e32 v107, 0xbeb8f4ab, v138
	v_mul_f32_e32 v234, 0xbf59a7d5, v183
	v_add_f32_e32 v106, v107, v106
	v_mov_b32_e32 v107, v234
	v_fmac_f32_e32 v107, 0x3f06c442, v140
	v_mul_f32_e32 v235, 0x3f3d2fb0, v187
	v_add_f32_e32 v106, v107, v106
	v_mov_b32_e32 v107, v235
	;; [unrolled: 4-line block ×6, first 2 shown]
	v_fmac_f32_e32 v107, 0xbf7ee86f, v149
	v_add_f32_e32 v107, v107, v106
	v_mul_f32_e32 v106, 0xbe3c28d5, v164
	buffer_store_dword v106, off, s[24:27], 0 offset:56 ; 4-byte Folded Spill
	v_fmac_f32_e32 v106, 0xbf7ba420, v134
	v_mul_f32_e32 v117, 0x3eb8f4ab, v169
	v_add_f32_e32 v106, v72, v106
	buffer_store_dword v117, off, s[24:27], 0 offset:60 ; 4-byte Folded Spill
	v_fmac_f32_e32 v117, 0x3f6eb680, v135
	v_add_f32_e32 v106, v117, v106
	v_mul_f32_e32 v117, 0xbf06c442, v173
	buffer_store_dword v117, off, s[24:27], 0 offset:64 ; 4-byte Folded Spill
	v_fmac_f32_e32 v117, 0xbf59a7d5, v137
	v_add_f32_e32 v106, v117, v106
	v_mul_f32_e32 v117, 0x3f2c7751, v179
	;; [unrolled: 4-line block ×6, first 2 shown]
	buffer_store_dword v117, off, s[24:27], 0 offset:84 ; 4-byte Folded Spill
	v_fmac_f32_e32 v117, 0x3dbcf732, v147
	v_mul_f32_e32 v248, 0xbf59a7d5, v172
	v_add_f32_e32 v106, v117, v106
	v_mov_b32_e32 v117, v248
	v_mul_f32_e32 v249, 0x3ee437d1, v178
	v_fmac_f32_e32 v117, 0x3f06c442, v136
	v_mov_b32_e32 v118, v249
	v_add_f32_e32 v117, v73, v117
	v_fmac_f32_e32 v118, 0xbf65296c, v138
	v_mul_f32_e32 v250, 0x3dbcf732, v183
	v_add_f32_e32 v117, v118, v117
	v_mov_b32_e32 v118, v250
	v_fmac_f32_e32 v118, 0x3f7ee86f, v140
	v_mul_f32_e32 v251, 0xbf1a4643, v187
	v_add_f32_e32 v117, v118, v117
	v_mov_b32_e32 v118, v251
	;; [unrolled: 4-line block ×6, first 2 shown]
	v_fmac_f32_e32 v118, 0x3f763a35, v149
	v_add_f32_e32 v118, v118, v117
	v_mul_f32_e32 v117, 0xbf06c442, v164
	buffer_store_dword v106, off, s[24:27], 0 offset:32 ; 4-byte Folded Spill
	s_nop 0
	buffer_store_dword v107, off, s[24:27], 0 offset:36 ; 4-byte Folded Spill
	buffer_store_dword v117, off, s[24:27], 0 offset:88 ; 4-byte Folded Spill
	v_fmac_f32_e32 v117, 0xbf59a7d5, v134
	v_mul_f32_e32 v119, 0x3f65296c, v169
	v_add_f32_e32 v117, v72, v117
	buffer_store_dword v119, off, s[24:27], 0 offset:92 ; 4-byte Folded Spill
	v_fmac_f32_e32 v119, 0x3ee437d1, v135
	v_add_f32_e32 v117, v119, v117
	v_mul_f32_e32 v119, 0xbf7ee86f, v173
	buffer_store_dword v119, off, s[24:27], 0 offset:96 ; 4-byte Folded Spill
	v_fmac_f32_e32 v119, 0x3dbcf732, v137
	v_add_f32_e32 v117, v119, v117
	v_mul_f32_e32 v119, 0x3f4c4adb, v179
	;; [unrolled: 4-line block ×3, first 2 shown]
	buffer_store_dword v119, off, s[24:27], 0 offset:104 ; 4-byte Folded Spill
	v_fmac_f32_e32 v119, 0x3f6eb680, v141
	v_mul_f32_e32 v244, 0xbe3c28d5, v188
	v_add_f32_e32 v117, v119, v117
	v_mov_b32_e32 v119, v244
	v_fmac_f32_e32 v119, 0xbf7ba420, v143
	v_mul_f32_e32 v247, 0x3f2c7751, v192
	v_add_f32_e32 v117, v119, v117
	v_mov_b32_e32 v119, v247
	buffer_store_dword v130, off, s[24:27], 0 offset:12 ; 4-byte Folded Spill
	v_mul_f32_e32 v130, 0xbf763a35, v194
	v_fmac_f32_e32 v119, 0x3f3d2fb0, v145
	v_mov_b32_e32 v107, v130
	v_add_f32_e32 v117, v119, v117
	v_fmac_f32_e32 v107, 0xbe8c1d8e, v147
	v_add_f32_e32 v117, v107, v117
	v_mul_f32_e32 v107, 0xbf1a4643, v172
	buffer_store_dword v117, off, s[24:27], 0 offset:40 ; 4-byte Folded Spill
	s_nop 0
	buffer_store_dword v118, off, s[24:27], 0 offset:44 ; 4-byte Folded Spill
	v_mov_b32_e32 v119, v107
	buffer_store_dword v132, off, s[24:27], 0 offset:20 ; 4-byte Folded Spill
	v_mul_f32_e32 v132, 0xbe8c1d8e, v178
	v_fmac_f32_e32 v119, 0x3f4c4adb, v136
	v_mov_b32_e32 v120, v132
	v_add_f32_e32 v119, v73, v119
	v_fmac_f32_e32 v120, 0xbf763a35, v138
	v_mul_f32_e32 v208, 0x3f6eb680, v183
	v_add_f32_e32 v119, v120, v119
	v_mov_b32_e32 v120, v208
	v_fmac_f32_e32 v120, 0x3eb8f4ab, v140
	v_mul_f32_e32 v212, 0xbf59a7d5, v187
	v_add_f32_e32 v119, v120, v119
	v_mov_b32_e32 v120, v212
	;; [unrolled: 4-line block ×5, first 2 shown]
	v_fmac_f32_e32 v120, 0x3e3c28d5, v148
	v_mul_f32_e32 v228, 0x3ee437d1, v197
	v_add_f32_e32 v74, v74, v72
	v_add_f32_e32 v119, v120, v119
	v_mov_b32_e32 v120, v228
	v_add_f32_e32 v74, v88, v74
	v_fmac_f32_e32 v120, 0xbf65296c, v149
	v_mul_f32_e32 v204, 0xbf4c4adb, v164
	v_add_f32_e32 v74, v90, v74
	v_add_f32_e32 v118, v120, v119
	v_mov_b32_e32 v119, v204
	v_mul_f32_e32 v205, 0x3f763a35, v169
	v_add_f32_e32 v74, v82, v74
	v_fmac_f32_e32 v119, 0xbf1a4643, v134
	v_mov_b32_e32 v121, v205
	v_add_f32_e32 v74, v84, v74
	v_add_f32_e32 v119, v72, v119
	v_fmac_f32_e32 v121, 0xbe8c1d8e, v135
	v_mul_f32_e32 v209, 0xbeb8f4ab, v173
	v_add_f32_e32 v74, v92, v74
	v_add_f32_e32 v119, v121, v119
	v_mov_b32_e32 v121, v209
	v_add_f32_e32 v74, v94, v74
	v_fmac_f32_e32 v121, 0x3f6eb680, v137
	v_mul_f32_e32 v213, 0xbf06c442, v179
	v_add_f32_e32 v75, v75, v73
	v_add_f32_e32 v74, v86, v74
	v_add_f32_e32 v119, v121, v119
	v_mov_b32_e32 v121, v213
	v_add_f32_e32 v75, v89, v75
	v_add_f32_e32 v74, v98, v74
	v_fmac_f32_e32 v121, 0xbf59a7d5, v139
	v_mul_f32_e32 v217, 0x3f7ee86f, v184
	v_add_f32_e32 v75, v91, v75
	v_add_f32_e32 v74, v100, v74
	v_add_f32_e32 v119, v121, v119
	v_mov_b32_e32 v121, v217
	v_add_f32_e32 v75, v83, v75
	;; [unrolled: 8-line block ×3, first 2 shown]
	v_add_f32_e32 v74, v80, v74
	v_fmac_f32_e32 v232, 0xbe3c28d5, v136
	v_fmac_f32_e32 v121, 0x3f3d2fb0, v143
	v_mul_f32_e32 v225, 0xbe3c28d5, v192
	v_add_f32_e32 v75, v95, v75
	v_add_f32_e32 v74, v76, v74
	;; [unrolled: 1-line block ×3, first 2 shown]
	v_fmac_f32_e32 v233, 0x3eb8f4ab, v138
	v_add_f32_e32 v119, v121, v119
	v_mov_b32_e32 v121, v225
	v_add_f32_e32 v75, v87, v75
	v_add_f32_e32 v76, v233, v76
	v_fmac_f32_e32 v234, 0xbf06c442, v140
	v_fmac_f32_e32 v121, 0xbf7ba420, v145
	v_mul_f32_e32 v229, 0x3f65296c, v194
	v_add_f32_e32 v75, v99, v75
	v_add_f32_e32 v76, v234, v76
	v_fmac_f32_e32 v235, 0x3f2c7751, v142
	v_add_f32_e32 v119, v121, v119
	v_mov_b32_e32 v121, v229
	v_add_f32_e32 v75, v101, v75
	v_add_f32_e32 v76, v235, v76
	v_fmac_f32_e32 v236, 0xbf4c4adb, v144
	v_fmac_f32_e32 v121, 0x3ee437d1, v147
	v_add_f32_e32 v75, v103, v75
	v_add_f32_e32 v76, v236, v76
	v_fmac_f32_e32 v237, 0x3f65296c, v146
	v_add_f32_e32 v117, v121, v119
	v_add_f32_e32 v75, v105, v75
	;; [unrolled: 1-line block ×3, first 2 shown]
	v_fmac_f32_e32 v238, 0xbf763a35, v148
	buffer_store_dword v117, off, s[24:27], 0 offset:48 ; 4-byte Folded Spill
	s_nop 0
	buffer_store_dword v118, off, s[24:27], 0 offset:52 ; 4-byte Folded Spill
	v_add_f32_e32 v75, v81, v75
	v_add_f32_e32 v76, v238, v76
	v_fmac_f32_e32 v239, 0x3f7ee86f, v149
	v_add_f32_e32 v75, v77, v75
	v_add_f32_e32 v77, v239, v76
	buffer_load_dword v76, off, s[24:27], 0 offset:56 ; 4-byte Folded Reload
	v_add_f32_e32 v74, v78, v74
	buffer_load_dword v78, off, s[24:27], 0 offset:60 ; 4-byte Folded Reload
	buffer_load_dword v80, off, s[24:27], 0 offset:92 ; 4-byte Folded Reload
	v_fmac_f32_e32 v248, 0xbf06c442, v136
	v_fmac_f32_e32 v249, 0x3f65296c, v138
	;; [unrolled: 1-line block ×8, first 2 shown]
	v_add_f32_e32 v75, v79, v75
	v_mul_f32_e32 v202, 0xbe8c1d8e, v172
	v_mov_b32_e32 v121, v202
	v_mul_f32_e32 v206, 0xbf59a7d5, v178
	v_fmac_f32_e32 v121, 0x3f763a35, v136
	v_mov_b32_e32 v122, v206
	v_add_f32_e32 v121, v73, v121
	v_fmac_f32_e32 v122, 0xbf06c442, v138
	v_mul_f32_e32 v210, 0x3f3d2fb0, v183
	v_add_f32_e32 v121, v122, v121
	v_mov_b32_e32 v122, v210
	v_fmac_f32_e32 v122, 0xbf2c7751, v140
	v_mul_f32_e32 v214, 0x3ee437d1, v187
	v_add_f32_e32 v121, v122, v121
	v_mov_b32_e32 v122, v214
	;; [unrolled: 4-line block ×7, first 2 shown]
	v_mul_f32_e32 v207, 0x3f06c442, v169
	v_fmac_f32_e32 v121, 0xbe8c1d8e, v134
	buffer_store_dword v198, off, s[24:27], 0 offset:28 ; 4-byte Folded Spill
	v_mov_b32_e32 v198, v207
	v_add_f32_e32 v121, v72, v121
	v_fmac_f32_e32 v198, 0xbf59a7d5, v135
	v_mul_f32_e32 v211, 0x3f2c7751, v173
	v_add_f32_e32 v121, v198, v121
	v_mov_b32_e32 v198, v211
	v_fmac_f32_e32 v198, 0x3f3d2fb0, v137
	v_mul_f32_e32 v215, 0xbf65296c, v179
	v_add_f32_e32 v121, v198, v121
	v_mov_b32_e32 v198, v215
	;; [unrolled: 4-line block ×7, first 2 shown]
	s_waitcnt vmcnt(3)
	v_fma_f32 v76, v134, s19, -v76
	v_add_f32_e32 v76, v72, v76
	s_waitcnt vmcnt(2)
	v_fma_f32 v78, v135, s14, -v78
	v_add_f32_e32 v76, v78, v76
	buffer_load_dword v78, off, s[24:27], 0 offset:64 ; 4-byte Folded Reload
	s_waitcnt vmcnt(2)
	v_fma_f32 v80, v135, s17, -v80
	v_mul_f32_e32 v200, 0xbf7ba420, v178
	v_fmac_f32_e32 v198, 0x3f7ee86f, v136
	v_mov_b32_e32 v199, v200
	v_add_f32_e32 v198, v73, v198
	v_fmac_f32_e32 v199, 0x3e3c28d5, v138
	buffer_store_dword v133, off, s[24:27], 0 offset:24 ; 4-byte Folded Spill
	v_mul_f32_e32 v133, 0xbe8c1d8e, v183
	v_add_f32_e32 v198, v199, v198
	v_mov_b32_e32 v199, v133
	v_fmac_f32_e32 v199, 0xbf763a35, v140
	buffer_store_dword v124, off, s[24:27], 0 ; 4-byte Folded Spill
	v_mul_f32_e32 v124, 0x3f6eb680, v187
	v_add_f32_e32 v198, v199, v198
	v_mov_b32_e32 v199, v124
	v_fmac_f32_e32 v199, 0xbeb8f4ab, v142
	v_mul_f32_e32 v240, 0x3ee437d1, v191
	v_add_f32_e32 v198, v199, v198
	v_mov_b32_e32 v199, v240
	v_fmac_f32_e32 v199, 0x3f65296c, v144
	;; [unrolled: 4-line block ×4, first 2 shown]
	v_mul_f32_e32 v242, 0x3f3d2fb0, v197
	v_add_f32_e32 v198, v199, v198
	v_mov_b32_e32 v199, v242
	buffer_store_dword v128, off, s[24:27], 0 offset:4 ; 4-byte Folded Spill
	v_mul_f32_e32 v128, 0xbf7ee86f, v164
	v_fmac_f32_e32 v199, 0xbf2c7751, v149
	v_mov_b32_e32 v117, v128
	buffer_store_dword v131, off, s[24:27], 0 offset:16 ; 4-byte Folded Spill
	v_mov_b32_e32 v131, v126
	v_mul_f32_e32 v126, 0xbe3c28d5, v169
	v_add_f32_e32 v199, v199, v198
	v_fmac_f32_e32 v117, 0x3dbcf732, v134
	v_mov_b32_e32 v198, v126
	v_add_f32_e32 v117, v72, v117
	v_fmac_f32_e32 v198, 0xbf7ba420, v135
	v_mul_f32_e32 v121, 0x3f763a35, v173
	v_fmac_f32_e32 v107, 0xbf4c4adb, v136
	v_add_f32_e32 v117, v198, v117
	v_mov_b32_e32 v198, v121
	v_mul_f32_e32 v119, 0x3eb8f4ab, v179
	v_fmac_f32_e32 v132, 0x3f763a35, v138
	v_fmac_f32_e32 v198, 0xbe8c1d8e, v137
	v_mov_b32_e32 v120, v119
	v_fmac_f32_e32 v208, 0xbeb8f4ab, v140
	v_add_f32_e32 v117, v198, v117
	v_fmac_f32_e32 v120, 0x3f6eb680, v139
	v_fmac_f32_e32 v212, 0xbf06c442, v142
	v_add_f32_e32 v117, v120, v117
	v_mul_f32_e32 v120, 0xbf65296c, v184
	v_fmac_f32_e32 v216, 0x3f7ee86f, v144
	v_mov_b32_e32 v198, v120
	v_mul_f32_e32 v118, 0xbf06c442, v188
	v_fmac_f32_e32 v220, 0xbf2c7751, v146
	v_fmac_f32_e32 v198, 0x3ee437d1, v141
	v_mov_b32_e32 v122, v118
	v_fmac_f32_e32 v224, 0xbe3c28d5, v148
	v_add_f32_e32 v117, v198, v117
	v_fmac_f32_e32 v122, 0xbf59a7d5, v143
	v_fmac_f32_e32 v228, 0x3f65296c, v149
	v_add_f32_e32 v117, v122, v117
	v_mul_f32_e32 v122, 0x3f4c4adb, v192
	v_mov_b32_e32 v198, v122
	v_fma_f32 v82, v135, s20, -v205
	buffer_store_dword v129, off, s[24:27], 0 offset:8 ; 4-byte Folded Spill
	v_mov_b32_e32 v129, v108
	v_fmac_f32_e32 v198, 0xbf1a4643, v145
	v_mul_f32_e32 v108, 0x3f2c7751, v194
	v_add_f32_e32 v117, v198, v117
	v_mov_b32_e32 v198, v108
	v_fmac_f32_e32 v198, 0x3f3d2fb0, v147
	v_add_f32_e32 v198, v198, v117
	s_waitcnt vmcnt(5)
	v_fma_f32 v78, v137, s21, -v78
	v_add_f32_e32 v76, v78, v76
	buffer_load_dword v78, off, s[24:27], 0 offset:68 ; 4-byte Folded Reload
	v_mul_f32_e32 v117, 0x3ee437d1, v172
	v_mov_b32_e32 v172, v117
	v_mul_f32_e32 v243, 0xbf1a4643, v178
	v_fmac_f32_e32 v172, 0x3f65296c, v136
	v_mov_b32_e32 v178, v243
	v_fmac_f32_e32 v202, 0xbf763a35, v136
	v_add_f32_e32 v172, v73, v172
	v_fmac_f32_e32 v178, 0x3f4c4adb, v138
	v_fmac_f32_e32 v206, 0x3f06c442, v138
	v_add_f32_e32 v172, v178, v172
	v_mul_f32_e32 v178, 0xbf7ba420, v183
	v_fmac_f32_e32 v210, 0x3f2c7751, v140
	v_mov_b32_e32 v183, v178
	v_fmac_f32_e32 v214, 0xbf65296c, v142
	v_fmac_f32_e32 v183, 0xbe3c28d5, v140
	;; [unrolled: 1-line block ×3, first 2 shown]
	v_add_f32_e32 v172, v183, v172
	v_mul_f32_e32 v183, 0xbe8c1d8e, v187
	v_fmac_f32_e32 v222, 0x3f7ee86f, v146
	v_mov_b32_e32 v187, v183
	v_fmac_f32_e32 v226, 0xbeb8f4ab, v148
	v_fmac_f32_e32 v187, 0xbf763a35, v142
	;; [unrolled: 1-line block ×3, first 2 shown]
	v_add_f32_e32 v172, v187, v172
	v_mul_f32_e32 v187, 0x3f3d2fb0, v191
	v_mov_b32_e32 v191, v187
	v_fma_f32 v84, v135, s21, -v207
	v_fmac_f32_e32 v191, 0xbf2c7751, v144
	v_add_f32_e32 v172, v191, v172
	v_mul_f32_e32 v191, 0x3f6eb680, v195
	v_mov_b32_e32 v195, v191
	v_fmac_f32_e32 v195, 0x3eb8f4ab, v146
	v_mul_f32_e32 v196, 0x3dbcf732, v196
	v_add_f32_e32 v172, v195, v172
	v_mov_b32_e32 v195, v196
	v_fmac_f32_e32 v195, 0x3f7ee86f, v148
	v_mul_f32_e32 v197, 0xbf59a7d5, v197
	v_fmac_f32_e32 v201, 0xbf7ee86f, v136
	v_add_f32_e32 v172, v195, v172
	v_mov_b32_e32 v195, v197
	v_fmac_f32_e32 v200, 0xbe3c28d5, v138
	v_fmac_f32_e32 v195, 0x3f06c442, v149
	;; [unrolled: 1-line block ×3, first 2 shown]
	v_add_f32_e32 v195, v195, v172
	v_mul_f32_e32 v172, 0xbf65296c, v164
	v_fmac_f32_e32 v124, 0x3eb8f4ab, v142
	v_mov_b32_e32 v164, v172
	v_mul_f32_e32 v106, 0xbf4c4adb, v169
	v_fmac_f32_e32 v164, 0x3ee437d1, v134
	v_mov_b32_e32 v169, v106
	v_add_f32_e32 v164, v72, v164
	v_fmac_f32_e32 v169, 0xbf1a4643, v135
	v_add_f32_e32 v164, v169, v164
	v_mul_f32_e32 v169, 0x3e3c28d5, v173
	v_mov_b32_e32 v173, v169
	v_fmac_f32_e32 v173, 0xbf7ba420, v137
	v_add_f32_e32 v164, v173, v164
	v_mul_f32_e32 v173, 0x3f763a35, v179
	v_mov_b32_e32 v179, v173
	;; [unrolled: 4-line block ×6, first 2 shown]
	v_fmac_f32_e32 v194, 0xbf59a7d5, v147
	v_add_f32_e32 v194, v194, v164
	v_mul_f32_e32 v164, 0xbf2c7751, v136
	v_sub_f32_e32 v158, v158, v164
	s_waitcnt vmcnt(0)
	v_fma_f32 v78, v139, s15, -v78
	v_add_f32_e32 v76, v78, v76
	buffer_load_dword v78, off, s[24:27], 0 offset:72 ; 4-byte Folded Reload
	v_mul_f32_e32 v164, 0xbf7ee86f, v138
	v_add_f32_e32 v158, v73, v158
	v_sub_f32_e32 v162, v162, v164
	v_add_f32_e32 v158, v162, v158
	v_mul_f32_e32 v162, 0xbf4c4adb, v140
	v_sub_f32_e32 v162, v167, v162
	v_add_f32_e32 v158, v162, v158
	v_mul_f32_e32 v162, 0xbe3c28d5, v142
	;; [unrolled: 3-line block ×7, first 2 shown]
	v_add_f32_e32 v155, v158, v155
	v_mul_f32_e32 v158, 0x3dbcf732, v135
	v_add_f32_e32 v155, v72, v155
	v_add_f32_e32 v158, v158, v159
	;; [unrolled: 1-line block ×3, first 2 shown]
	v_mul_f32_e32 v158, 0xbf1a4643, v137
	v_add_f32_e32 v158, v158, v163
	v_add_f32_e32 v155, v158, v155
	v_mul_f32_e32 v158, 0xbf7ba420, v139
	v_add_f32_e32 v158, v158, v168
	v_add_f32_e32 v155, v158, v155
	;; [unrolled: 3-line block ×6, first 2 shown]
	v_mul_f32_e32 v155, 0xbeb8f4ab, v136
	v_sub_f32_e32 v151, v151, v155
	v_mul_f32_e32 v155, 0xbf2c7751, v138
	v_add_f32_e32 v151, v73, v151
	v_sub_f32_e32 v153, v153, v155
	v_add_f32_e32 v151, v153, v151
	v_mul_f32_e32 v153, 0xbf65296c, v140
	v_sub_f32_e32 v153, v156, v153
	v_add_f32_e32 v151, v153, v151
	v_mul_f32_e32 v153, 0xbf7ee86f, v142
	;; [unrolled: 3-line block ×4, first 2 shown]
	v_fmac_f32_e32 v240, 0xbf65296c, v144
	v_sub_f32_e32 v153, v171, v153
	v_fmac_f32_e32 v152, 0xbf06c442, v146
	v_add_f32_e32 v151, v153, v151
	v_mul_f32_e32 v153, 0xbf06c442, v148
	v_fmac_f32_e32 v241, 0x3f4c4adb, v148
	v_sub_f32_e32 v153, v177, v153
	v_fmac_f32_e32 v242, 0x3f2c7751, v149
	v_add_f32_e32 v151, v153, v151
	v_mul_f32_e32 v153, 0xbe3c28d5, v149
	v_sub_f32_e32 v153, v182, v153
	v_fma_f32 v86, v135, s19, -v126
	v_add_f32_e32 v151, v153, v151
	v_mul_f32_e32 v153, 0x3f6eb680, v134
	v_add_f32_e32 v150, v153, v150
	v_mul_f32_e32 v153, 0x3f3d2fb0, v135
	v_add_f32_e32 v150, v72, v150
	s_waitcnt vmcnt(0)
	v_fma_f32 v78, v141, s18, -v78
	v_add_f32_e32 v76, v78, v76
	buffer_load_dword v78, off, s[24:27], 0 offset:76 ; 4-byte Folded Reload
	v_add_f32_e32 v127, v153, v127
	v_add_f32_e32 v127, v127, v150
	v_mul_f32_e32 v150, 0x3ee437d1, v137
	v_add_f32_e32 v150, v150, v154
	v_add_f32_e32 v127, v150, v127
	v_mul_f32_e32 v150, 0x3dbcf732, v139
	;; [unrolled: 3-line block ×6, first 2 shown]
	v_add_f32_e32 v150, v150, v176
	v_mov_b32_e32 v126, v131
	v_add_f32_e32 v150, v150, v127
	v_add_f32_e32 v75, v116, v75
	v_add_f32_e32 v74, v115, v74
	v_fmac_f32_e32 v117, 0xbf65296c, v136
	v_fmac_f32_e32 v243, 0xbf4c4adb, v138
	;; [unrolled: 1-line block ×8, first 2 shown]
	s_waitcnt vmcnt(0)
	v_fma_f32 v78, v143, s17, -v78
	v_add_f32_e32 v76, v78, v76
	buffer_load_dword v78, off, s[24:27], 0 offset:80 ; 4-byte Folded Reload
	s_waitcnt vmcnt(0)
	v_fma_f32 v78, v145, s20, -v78
	v_add_f32_e32 v76, v78, v76
	buffer_load_dword v78, off, s[24:27], 0 offset:84 ; 4-byte Folded Reload
	s_waitcnt vmcnt(0)
	v_fma_f32 v78, v147, s16, -v78
	v_add_f32_e32 v76, v78, v76
	v_add_f32_e32 v78, v73, v248
	;; [unrolled: 1-line block ×9, first 2 shown]
	buffer_load_dword v78, off, s[24:27], 0 offset:88 ; 4-byte Folded Reload
	s_waitcnt vmcnt(0)
	v_fma_f32 v78, v134, s21, -v78
	v_add_f32_e32 v78, v72, v78
	v_add_f32_e32 v78, v80, v78
	buffer_load_dword v80, off, s[24:27], 0 offset:96 ; 4-byte Folded Reload
	s_waitcnt vmcnt(0)
	v_fma_f32 v80, v137, s16, -v80
	v_add_f32_e32 v78, v80, v78
	buffer_load_dword v80, off, s[24:27], 0 offset:100 ; 4-byte Folded Reload
	s_waitcnt vmcnt(0)
	v_fma_f32 v80, v139, s18, -v80
	;; [unrolled: 4-line block ×3, first 2 shown]
	v_add_f32_e32 v78, v80, v78
	v_fma_f32 v80, v143, s19, -v244
	v_add_f32_e32 v78, v80, v78
	v_fma_f32 v80, v145, s15, -v247
	;; [unrolled: 2-line block ×3, first 2 shown]
	v_add_f32_e32 v78, v80, v78
	v_add_f32_e32 v80, v73, v107
	;; [unrolled: 1-line block ×9, first 2 shown]
	v_fma_f32 v80, v134, s18, -v204
	v_add_f32_e32 v80, v72, v80
	v_add_f32_e32 v80, v82, v80
	v_fma_f32 v82, v137, s14, -v209
	v_add_f32_e32 v80, v82, v80
	v_fma_f32 v82, v139, s21, -v213
	;; [unrolled: 2-line block ×6, first 2 shown]
	v_add_f32_e32 v80, v82, v80
	v_add_f32_e32 v82, v73, v202
	;; [unrolled: 1-line block ×9, first 2 shown]
	v_fma_f32 v82, v134, s20, -v203
	v_add_f32_e32 v82, v72, v82
	v_add_f32_e32 v82, v84, v82
	v_fma_f32 v84, v137, s15, -v211
	v_add_f32_e32 v82, v84, v82
	v_fma_f32 v84, v139, s17, -v215
	;; [unrolled: 2-line block ×6, first 2 shown]
	v_add_f32_e32 v82, v84, v82
	v_add_f32_e32 v84, v73, v201
	;; [unrolled: 1-line block ×5, first 2 shown]
	buffer_load_dword v124, off, s[24:27], 0 ; 4-byte Folded Reload
	v_add_f32_e32 v84, v240, v84
	v_add_f32_e32 v84, v152, v84
	;; [unrolled: 1-line block ×4, first 2 shown]
	v_fma_f32 v84, v134, s16, -v128
	v_add_f32_e32 v84, v72, v84
	v_add_f32_e32 v84, v86, v84
	v_fma_f32 v86, v137, s20, -v121
	v_add_f32_e32 v84, v86, v84
	v_fma_f32 v86, v139, s14, -v119
	;; [unrolled: 2-line block ×14, first 2 shown]
	buffer_load_dword v130, off, s[24:27], 0 offset:12 ; 4-byte Folded Reload
	buffer_load_dword v132, off, s[24:27], 0 offset:20 ; 4-byte Folded Reload
	;; [unrolled: 1-line block ×5, first 2 shown]
	v_add_f32_e32 v72, v86, v72
	v_mov_b32_e32 v108, v129
	v_add_f32_e32 v73, v73, v117
	v_add_f32_e32 v73, v243, v73
	;; [unrolled: 1-line block ×8, first 2 shown]
	s_waitcnt vmcnt(5)
	v_mul_lo_u16_e32 v86, 17, v124
	v_lshlrev_b32_e32 v86, 3, v86
	ds_write2_b64 v86, v[74:75], v[150:151] offset1:1
	ds_write2_b64 v86, v[163:164], v[194:195] offset0:2 offset1:3
	ds_write2_b64 v86, v[198:199], v[245:246] offset0:4 offset1:5
	buffer_load_dword v198, off, s[24:27], 0 offset:28 ; 4-byte Folded Reload
	buffer_load_dword v129, off, s[24:27], 0 offset:8 ; 4-byte Folded Reload
	;; [unrolled: 1-line block ×6, first 2 shown]
	s_waitcnt vmcnt(0)
	ds_write2_b64 v86, v[87:88], v[74:75] offset0:6 offset1:7
	buffer_load_dword v74, off, s[24:27], 0 offset:32 ; 4-byte Folded Reload
	buffer_load_dword v75, off, s[24:27], 0 offset:36 ; 4-byte Folded Reload
	s_waitcnt vmcnt(0)
	ds_write2_b64 v86, v[74:75], v[76:77] offset0:8 offset1:9
	ds_write2_b64 v86, v[78:79], v[80:81] offset0:10 offset1:11
	;; [unrolled: 1-line block ×4, first 2 shown]
	ds_write_b64 v86, v[68:69] offset:128
.LBB0_17:
	s_or_b64 exec, exec, s[4:5]
	v_add_u32_e32 v72, 0x800, v125
	s_waitcnt lgkmcnt(0)
	s_barrier
	ds_read2_b64 v[72:75], v72 offset0:152 offset1:254
	v_add_u32_e32 v104, 0x1c00, v125
	ds_read2_b64 v[80:83], v104 offset0:124 offset1:226
	v_add_u32_e32 v84, 0x1000, v125
	ds_read2_b64 v[84:87], v84 offset0:100 offset1:202
	ds_read2_b64 v[76:79], v125 offset1:102
	s_waitcnt lgkmcnt(3)
	v_mul_f32_e32 v107, v13, v75
	v_mul_f32_e32 v13, v13, v74
	v_fmac_f32_e32 v107, v12, v74
	v_fma_f32 v74, v12, v75, -v13
	s_waitcnt lgkmcnt(2)
	v_mul_f32_e32 v75, v15, v81
	v_add_u32_e32 v106, 0x2400, v125
	v_fmac_f32_e32 v75, v14, v80
	v_mul_f32_e32 v12, v15, v80
	s_waitcnt lgkmcnt(1)
	v_mul_f32_e32 v80, v9, v85
	v_mul_f32_e32 v9, v9, v84
	ds_read2_b64 v[92:95], v106 offset0:72 offset1:174
	v_fmac_f32_e32 v80, v8, v84
	v_fma_f32 v8, v8, v85, -v9
	v_mul_f32_e32 v9, v11, v83
	v_mul_f32_e32 v11, v11, v82
	v_add_f32_e32 v13, v107, v75
	v_fma_f32 v15, v14, v81, -v12
	v_fmac_f32_e32 v9, v10, v82
	v_fma_f32 v10, v10, v83, -v11
	v_mul_f32_e32 v11, v17, v87
	v_mul_f32_e32 v12, v17, v86
	s_waitcnt lgkmcnt(1)
	v_fma_f32 v14, -0.5, v13, v76
	v_add_u32_e32 v105, 0x400, v125
	v_add_u32_e32 v98, 0x1800, v125
	v_fmac_f32_e32 v11, v16, v86
	v_fma_f32 v81, v16, v87, -v12
	v_sub_f32_e32 v13, v74, v15
	v_mov_b32_e32 v16, v14
	ds_read2_b64 v[88:91], v105 offset0:76 offset1:178
	ds_read2_b64 v[98:101], v98 offset0:48 offset1:150
	ds_read_b64 v[102:103], v125 offset:11424
	v_fmac_f32_e32 v16, 0xbf5db3d7, v13
	v_fmac_f32_e32 v14, 0x3f5db3d7, v13
	v_add_f32_e32 v13, v77, v74
	v_add_f32_e32 v13, v13, v15
	;; [unrolled: 1-line block ×3, first 2 shown]
	s_waitcnt lgkmcnt(3)
	v_mul_f32_e32 v82, v19, v93
	v_mul_f32_e32 v12, v19, v92
	v_fma_f32 v15, -0.5, v15, v77
	v_fmac_f32_e32 v82, v18, v92
	v_fma_f32 v83, v18, v93, -v12
	v_sub_f32_e32 v18, v107, v75
	v_mov_b32_e32 v17, v15
	v_add_f32_e32 v19, v80, v9
	s_waitcnt lgkmcnt(1)
	v_mul_f32_e32 v84, v21, v99
	v_mul_f32_e32 v12, v21, v98
	v_fmac_f32_e32 v17, 0x3f5db3d7, v18
	v_fmac_f32_e32 v15, 0xbf5db3d7, v18
	v_add_f32_e32 v18, v78, v80
	v_fma_f32 v78, -0.5, v19, v78
	v_fmac_f32_e32 v84, v20, v98
	v_fma_f32 v85, v20, v99, -v12
	v_sub_f32_e32 v19, v8, v10
	v_mov_b32_e32 v20, v78
	v_fmac_f32_e32 v20, 0xbf5db3d7, v19
	v_fmac_f32_e32 v78, 0x3f5db3d7, v19
	v_add_f32_e32 v19, v79, v8
	v_add_f32_e32 v8, v8, v10
	v_fmac_f32_e32 v79, -0.5, v8
	v_sub_f32_e32 v8, v80, v9
	v_mov_b32_e32 v21, v79
	v_mul_f32_e32 v86, v23, v95
	v_mul_f32_e32 v12, v23, v94
	v_fmac_f32_e32 v21, 0x3f5db3d7, v8
	v_fmac_f32_e32 v79, 0xbf5db3d7, v8
	v_add_f32_e32 v8, v88, v11
	v_fmac_f32_e32 v86, v22, v94
	v_fma_f32 v87, v22, v95, -v12
	v_mul_f32_e32 v92, v25, v101
	v_mul_f32_e32 v12, v25, v100
	v_add_f32_e32 v22, v8, v82
	v_add_f32_e32 v8, v11, v82
	v_fmac_f32_e32 v92, v24, v100
	v_fma_f32 v93, v24, v101, -v12
	s_waitcnt lgkmcnt(0)
	v_mul_f32_e32 v94, v27, v103
	v_mul_f32_e32 v12, v27, v102
	v_fma_f32 v24, -0.5, v8, v88
	v_fmac_f32_e32 v94, v26, v102
	v_fma_f32 v95, v26, v103, -v12
	v_sub_f32_e32 v8, v81, v83
	v_mov_b32_e32 v26, v24
	v_fmac_f32_e32 v26, 0xbf5db3d7, v8
	v_fmac_f32_e32 v24, 0x3f5db3d7, v8
	v_add_f32_e32 v8, v89, v81
	v_add_f32_e32 v23, v8, v83
	;; [unrolled: 1-line block ×3, first 2 shown]
	v_fma_f32 v25, -0.5, v8, v89
	v_sub_f32_e32 v8, v11, v82
	v_mov_b32_e32 v27, v25
	v_fmac_f32_e32 v27, 0x3f5db3d7, v8
	v_fmac_f32_e32 v25, 0xbf5db3d7, v8
	v_add_f32_e32 v8, v90, v84
	v_add_f32_e32 v74, v8, v86
	;; [unrolled: 1-line block ×3, first 2 shown]
	v_fma_f32 v90, -0.5, v8, v90
	v_add_f32_e32 v12, v76, v107
	v_sub_f32_e32 v8, v85, v87
	v_mov_b32_e32 v76, v90
	v_fmac_f32_e32 v76, 0xbf5db3d7, v8
	v_fmac_f32_e32 v90, 0x3f5db3d7, v8
	v_add_f32_e32 v8, v91, v85
	v_add_f32_e32 v12, v12, v75
	;; [unrolled: 1-line block ×4, first 2 shown]
	v_fmac_f32_e32 v91, -0.5, v8
	v_add_f32_e32 v18, v18, v9
	v_sub_f32_e32 v8, v84, v86
	v_mov_b32_e32 v77, v91
	v_add_f32_e32 v9, v92, v94
	v_fmac_f32_e32 v77, 0x3f5db3d7, v8
	v_fmac_f32_e32 v91, 0xbf5db3d7, v8
	v_add_f32_e32 v8, v72, v92
	v_fma_f32 v72, -0.5, v9, v72
	v_add_f32_e32 v19, v19, v10
	v_sub_f32_e32 v9, v93, v95
	v_mov_b32_e32 v10, v72
	v_add_f32_e32 v11, v93, v95
	v_fmac_f32_e32 v10, 0xbf5db3d7, v9
	v_fmac_f32_e32 v72, 0x3f5db3d7, v9
	v_add_f32_e32 v9, v73, v93
	v_fmac_f32_e32 v73, -0.5, v11
	v_sub_f32_e32 v80, v92, v94
	v_mov_b32_e32 v11, v73
	v_add_f32_e32 v8, v8, v94
	v_add_f32_e32 v9, v9, v95
	v_fmac_f32_e32 v11, 0x3f5db3d7, v80
	v_fmac_f32_e32 v73, 0xbf5db3d7, v80
	s_barrier
	ds_write2_b64 v126, v[12:13], v[16:17] offset1:17
	ds_write_b64 v126, v[14:15] offset:272
	ds_write2_b64 v128, v[18:19], v[20:21] offset1:17
	ds_write_b64 v128, v[78:79] offset:272
	;; [unrolled: 2-line block ×5, first 2 shown]
	v_add_u32_e32 v16, 0xc00, v125
	s_waitcnt lgkmcnt(0)
	s_barrier
	ds_read2_b64 v[12:15], v125 offset1:102
	ds_read2_b64 v[80:83], v105 offset0:127 offset1:229
	ds_read2_b64 v[76:79], v16 offset0:126 offset1:228
	v_add_u32_e32 v16, 0x1400, v125
	ds_read2_b64 v[24:27], v16 offset0:125 offset1:227
	ds_read2_b64 v[20:23], v104 offset0:124 offset1:226
	ds_read2_b64 v[16:19], v106 offset0:123 offset1:225
	s_and_saveexec_b64 s[4:5], s[2:3]
	s_cbranch_execz .LBB0_19
; %bb.18:
	v_add_u32_e32 v68, 0x1650, v125
	v_add_u32_e32 v8, 0x660, v125
	ds_read2_b64 v[72:75], v68 offset1:255
	v_add_u32_e32 v68, 0x2640, v125
	ds_read2_b64 v[8:11], v8 offset1:255
	ds_read2_b64 v[68:71], v68 offset1:255
	s_waitcnt lgkmcnt(2)
	v_mov_b32_e32 v96, v74
	v_mov_b32_e32 v97, v75
.LBB0_19:
	s_or_b64 exec, exec, s[4:5]
	s_waitcnt lgkmcnt(4)
	v_mul_f32_e32 v74, v33, v81
	v_mul_f32_e32 v33, v33, v80
	v_fmac_f32_e32 v74, v32, v80
	v_fma_f32 v32, v32, v81, -v33
	s_waitcnt lgkmcnt(3)
	v_mul_f32_e32 v33, v35, v77
	v_mul_f32_e32 v35, v35, v76
	v_fmac_f32_e32 v33, v34, v76
	v_fma_f32 v34, v34, v77, -v35
	s_waitcnt lgkmcnt(2)
	v_mul_f32_e32 v35, v29, v25
	v_fmac_f32_e32 v35, v28, v24
	v_mul_f32_e32 v24, v29, v24
	v_fma_f32 v24, v28, v25, -v24
	s_waitcnt lgkmcnt(1)
	v_mul_f32_e32 v25, v31, v21
	v_fmac_f32_e32 v25, v30, v20
	v_mul_f32_e32 v20, v31, v20
	;; [unrolled: 5-line block ×3, first 2 shown]
	v_fma_f32 v16, v111, v17, -v16
	v_mul_f32_e32 v31, v41, v83
	v_mul_f32_e32 v17, v41, v82
	v_fmac_f32_e32 v31, v40, v82
	v_fma_f32 v40, v40, v83, -v17
	v_mul_f32_e32 v17, v43, v78
	v_fma_f32 v29, v42, v79, -v17
	v_mul_f32_e32 v30, v37, v27
	v_mul_f32_e32 v17, v37, v26
	v_fmac_f32_e32 v30, v36, v26
	v_fma_f32 v26, v36, v27, -v17
	v_mul_f32_e32 v17, v39, v22
	v_mul_f32_e32 v27, v39, v23
	v_fma_f32 v36, v38, v23, -v17
	v_mul_f32_e32 v17, v114, v18
	v_fmac_f32_e32 v27, v38, v22
	v_fma_f32 v38, v113, v19, -v17
	v_add_f32_e32 v17, v12, v33
	v_add_f32_e32 v22, v17, v25
	;; [unrolled: 1-line block ×3, first 2 shown]
	v_fma_f32 v23, -0.5, v17, v12
	v_sub_f32_e32 v12, v34, v20
	v_mov_b32_e32 v39, v23
	v_fmac_f32_e32 v39, 0xbf5db3d7, v12
	v_fmac_f32_e32 v23, 0x3f5db3d7, v12
	v_add_f32_e32 v12, v13, v34
	v_add_f32_e32 v41, v12, v20
	;; [unrolled: 1-line block ×3, first 2 shown]
	v_fma_f32 v34, -0.5, v12, v13
	v_sub_f32_e32 v12, v33, v25
	v_mov_b32_e32 v25, v34
	v_fmac_f32_e32 v25, 0x3f5db3d7, v12
	v_fmac_f32_e32 v34, 0xbf5db3d7, v12
	v_add_f32_e32 v12, v74, v35
	v_add_f32_e32 v20, v12, v21
	;; [unrolled: 1-line block ×3, first 2 shown]
	v_fmac_f32_e32 v74, -0.5, v12
	v_sub_f32_e32 v12, v24, v16
	v_mov_b32_e32 v17, v74
	v_fmac_f32_e32 v17, 0xbf5db3d7, v12
	v_fmac_f32_e32 v74, 0x3f5db3d7, v12
	v_add_f32_e32 v12, v32, v24
	v_add_f32_e32 v33, v12, v16
	;; [unrolled: 1-line block ×3, first 2 shown]
	v_fmac_f32_e32 v32, -0.5, v12
	v_mul_f32_e32 v37, v114, v19
	v_sub_f32_e32 v12, v35, v21
	v_mov_b32_e32 v19, v32
	v_fmac_f32_e32 v19, 0x3f5db3d7, v12
	v_mul_f32_e32 v28, v43, v79
	v_fmac_f32_e32 v32, 0xbf5db3d7, v12
	v_mul_f32_e32 v21, 0xbf5db3d7, v19
	v_fmac_f32_e32 v28, v42, v78
	v_fmac_f32_e32 v21, 0.5, v17
	v_mul_f32_e32 v24, 0xbf5db3d7, v32
	v_mul_f32_e32 v35, 0.5, v19
	v_mul_f32_e32 v32, -0.5, v32
	v_add_f32_e32 v12, v22, v20
	v_add_f32_e32 v16, v39, v21
	v_fmac_f32_e32 v24, -0.5, v74
	v_add_f32_e32 v13, v41, v33
	v_fmac_f32_e32 v35, 0x3f5db3d7, v17
	v_fmac_f32_e32 v32, 0x3f5db3d7, v74
	v_sub_f32_e32 v20, v22, v20
	v_sub_f32_e32 v22, v39, v21
	;; [unrolled: 1-line block ×3, first 2 shown]
	v_add_f32_e32 v33, v28, v27
	v_fmac_f32_e32 v37, v113, v18
	v_add_f32_e32 v18, v23, v24
	v_add_f32_e32 v17, v25, v35
	;; [unrolled: 1-line block ×3, first 2 shown]
	v_sub_f32_e32 v24, v23, v24
	v_sub_f32_e32 v23, v25, v35
	;; [unrolled: 1-line block ×3, first 2 shown]
	v_add_f32_e32 v32, v14, v28
	v_fma_f32 v14, -0.5, v33, v14
	v_sub_f32_e32 v33, v29, v36
	v_mov_b32_e32 v34, v14
	v_fmac_f32_e32 v34, 0xbf5db3d7, v33
	v_fmac_f32_e32 v14, 0x3f5db3d7, v33
	v_add_f32_e32 v33, v15, v29
	v_add_f32_e32 v29, v29, v36
	v_fmac_f32_e32 v15, -0.5, v29
	v_add_f32_e32 v32, v32, v27
	v_sub_f32_e32 v27, v28, v27
	v_mov_b32_e32 v35, v15
	v_fmac_f32_e32 v35, 0x3f5db3d7, v27
	v_fmac_f32_e32 v15, 0xbf5db3d7, v27
	v_add_f32_e32 v27, v31, v30
	v_add_f32_e32 v33, v33, v36
	;; [unrolled: 1-line block ×4, first 2 shown]
	v_fmac_f32_e32 v31, -0.5, v27
	v_sub_f32_e32 v27, v26, v38
	v_mov_b32_e32 v29, v31
	v_fmac_f32_e32 v29, 0xbf5db3d7, v27
	v_fmac_f32_e32 v31, 0x3f5db3d7, v27
	v_add_f32_e32 v27, v40, v26
	v_add_f32_e32 v26, v26, v38
	v_fmac_f32_e32 v40, -0.5, v26
	v_sub_f32_e32 v26, v30, v37
	v_mov_b32_e32 v37, v40
	v_fmac_f32_e32 v37, 0x3f5db3d7, v26
	v_fmac_f32_e32 v40, 0xbf5db3d7, v26
	v_add_f32_e32 v39, v27, v38
	v_mul_f32_e32 v38, 0xbf5db3d7, v37
	v_mul_f32_e32 v41, 0xbf5db3d7, v40
	v_mul_f32_e32 v37, 0.5, v37
	v_mul_f32_e32 v40, -0.5, v40
	v_fmac_f32_e32 v38, 0.5, v29
	v_fmac_f32_e32 v41, -0.5, v31
	v_fmac_f32_e32 v37, 0x3f5db3d7, v29
	v_fmac_f32_e32 v40, 0x3f5db3d7, v31
	v_add_f32_e32 v26, v32, v36
	v_add_f32_e32 v28, v34, v38
	;; [unrolled: 1-line block ×6, first 2 shown]
	v_sub_f32_e32 v32, v32, v36
	v_sub_f32_e32 v34, v34, v38
	;; [unrolled: 1-line block ×6, first 2 shown]
	s_barrier
	ds_write2_b64 v133, v[12:13], v[16:17] offset1:51
	ds_write2_b64 v133, v[18:19], v[20:21] offset0:102 offset1:153
	ds_write2_b64 v133, v[22:23], v[24:25] offset0:204 offset1:255
	ds_write2_b64 v198, v[26:27], v[28:29] offset1:51
	ds_write2_b64 v198, v[30:31], v[32:33] offset0:102 offset1:153
	ds_write2_b64 v198, v[34:35], v[14:15] offset0:204 offset1:255
	s_and_saveexec_b64 s[4:5], s[2:3]
	s_cbranch_execz .LBB0_21
; %bb.20:
	v_mul_f32_e32 v17, v5, v97
	v_mul_f32_e32 v18, v110, v71
	;; [unrolled: 1-line block ×3, first 2 shown]
	v_fmac_f32_e32 v17, v4, v96
	v_fmac_f32_e32 v18, v109, v70
	v_mul_f32_e32 v12, v3, v72
	v_mul_f32_e32 v15, v3, v73
	v_fmac_f32_e32 v16, v0, v10
	v_add_f32_e32 v3, v17, v18
	v_fma_f32 v19, -0.5, v3, v16
	v_mul_f32_e32 v3, v5, v96
	v_mul_f32_e32 v13, v7, v68
	v_fma_f32 v4, v4, v97, -v3
	v_mul_f32_e32 v3, v110, v70
	v_fma_f32 v12, v2, v73, -v12
	v_fma_f32 v13, v6, v69, -v13
	;; [unrolled: 1-line block ×3, first 2 shown]
	v_mul_f32_e32 v1, v1, v10
	v_add_f32_e32 v14, v12, v13
	v_mul_f32_e32 v7, v7, v69
	v_fma_f32 v0, v0, v11, -v1
	v_add_f32_e32 v1, v4, v5
	v_fma_f32 v14, -0.5, v14, v9
	v_fmac_f32_e32 v15, v2, v72
	v_fmac_f32_e32 v7, v6, v68
	v_fma_f32 v10, -0.5, v1, v0
	v_add_f32_e32 v0, v0, v4
	v_sub_f32_e32 v2, v15, v7
	v_mov_b32_e32 v6, v14
	v_sub_f32_e32 v11, v17, v18
	v_mov_b32_e32 v21, v10
	v_add_f32_e32 v24, v0, v5
	v_add_f32_e32 v0, v15, v7
	v_fmac_f32_e32 v6, 0xbf5db3d7, v2
	v_sub_f32_e32 v3, v4, v5
	v_mov_b32_e32 v20, v19
	v_fmac_f32_e32 v21, 0xbf5db3d7, v11
	v_fmac_f32_e32 v14, 0x3f5db3d7, v2
	;; [unrolled: 1-line block ×3, first 2 shown]
	v_add_f32_e32 v2, v9, v12
	v_fma_f32 v25, -0.5, v0, v8
	v_add_f32_e32 v4, v8, v15
	v_fmac_f32_e32 v20, 0x3f5db3d7, v3
	v_mul_f32_e32 v22, -0.5, v21
	v_fmac_f32_e32 v19, 0xbf5db3d7, v3
	v_mul_f32_e32 v11, 0.5, v10
	v_add_f32_e32 v23, v2, v13
	v_sub_f32_e32 v2, v12, v13
	v_mov_b32_e32 v12, v25
	v_mul_f32_e32 v13, 0xbf5db3d7, v21
	v_mul_f32_e32 v10, 0xbf5db3d7, v10
	v_add_f32_e32 v15, v4, v7
	v_add_f32_e32 v4, v16, v17
	v_fmac_f32_e32 v22, 0x3f5db3d7, v20
	v_fmac_f32_e32 v11, 0x3f5db3d7, v19
	;; [unrolled: 1-line block ×3, first 2 shown]
	v_fmac_f32_e32 v13, -0.5, v20
	v_fmac_f32_e32 v25, 0xbf5db3d7, v2
	v_fmac_f32_e32 v10, 0.5, v19
	v_add_f32_e32 v16, v4, v18
	v_sub_f32_e32 v1, v6, v22
	v_sub_f32_e32 v3, v14, v11
	;; [unrolled: 1-line block ×4, first 2 shown]
	v_add_f32_e32 v7, v6, v22
	v_add_f32_e32 v9, v14, v11
	;; [unrolled: 1-line block ×6, first 2 shown]
	v_add_u32_e32 v12, 0x2000, v132
	v_sub_f32_e32 v5, v23, v24
	v_sub_f32_e32 v4, v15, v16
	ds_write2_b64 v12, v[10:11], v[8:9] offset0:200 offset1:251
	v_add_u32_e32 v8, 0x2800, v132
	ds_write2_b64 v8, v[6:7], v[4:5] offset0:46 offset1:97
	ds_write2_b64 v8, v[2:3], v[0:1] offset0:148 offset1:199
.LBB0_21:
	s_or_b64 exec, exec, s[4:5]
	v_add_u32_e32 v30, 0x400, v125
	s_waitcnt lgkmcnt(0)
	s_barrier
	ds_read2_b64 v[4:7], v30 offset0:76 offset1:178
	v_add_u32_e32 v31, 0x1000, v125
	ds_read2_b64 v[8:11], v31 offset0:100 offset1:202
	v_add_u32_e32 v32, 0x1800, v125
	;; [unrolled: 2-line block ×4, first 2 shown]
	ds_read2_b64 v[20:23], v34 offset0:152 offset1:254
	s_waitcnt lgkmcnt(4)
	v_mul_f32_e32 v36, v49, v7
	v_fmac_f32_e32 v36, v48, v6
	v_mul_f32_e32 v6, v49, v6
	v_add_u32_e32 v35, 0x1c00, v125
	v_fma_f32 v37, v48, v7, -v6
	s_waitcnt lgkmcnt(3)
	v_mul_f32_e32 v6, v51, v8
	ds_read2_b64 v[0:3], v125 offset1:102
	ds_read2_b64 v[24:27], v35 offset0:124 offset1:226
	ds_read_b64 v[28:29], v125 offset:11424
	v_fma_f32 v39, v50, v9, -v6
	s_waitcnt lgkmcnt(5)
	v_mul_f32_e32 v40, v45, v15
	v_mul_f32_e32 v6, v45, v14
	v_fmac_f32_e32 v40, v44, v14
	v_fma_f32 v14, v44, v15, -v6
	s_waitcnt lgkmcnt(4)
	v_mul_f32_e32 v15, v47, v17
	v_mul_f32_e32 v6, v47, v16
	;; [unrolled: 1-line block ×3, first 2 shown]
	v_fmac_f32_e32 v15, v46, v16
	v_fma_f32 v16, v46, v17, -v6
	s_waitcnt lgkmcnt(3)
	v_mul_f32_e32 v6, v57, v20
	v_fmac_f32_e32 v38, v50, v8
	v_fma_f32 v42, v56, v21, -v6
	v_mul_f32_e32 v6, v59, v10
	v_fma_f32 v43, v58, v11, -v6
	s_waitcnt lgkmcnt(1)
	v_mul_f32_e32 v44, v53, v25
	v_mul_f32_e32 v6, v53, v24
	v_add_f32_e32 v7, v38, v40
	v_mul_f32_e32 v41, v57, v21
	v_mul_f32_e32 v21, v59, v11
	v_fmac_f32_e32 v44, v52, v24
	v_fma_f32 v24, v52, v25, -v6
	v_mul_f32_e32 v6, v55, v18
	v_fma_f32 v8, -0.5, v7, v0
	v_fmac_f32_e32 v21, v58, v10
	v_fma_f32 v45, v54, v19, -v6
	v_mul_f32_e32 v6, v65, v22
	v_mul_f32_e32 v48, v67, v13
	v_sub_f32_e32 v7, v37, v16
	v_mov_b32_e32 v10, v8
	v_fma_f32 v47, v64, v23, -v6
	v_fmac_f32_e32 v48, v66, v12
	v_mul_f32_e32 v6, v67, v12
	v_fmac_f32_e32 v10, 0xbf737871, v7
	v_sub_f32_e32 v9, v39, v14
	v_sub_f32_e32 v11, v36, v38
	;; [unrolled: 1-line block ×3, first 2 shown]
	v_fmac_f32_e32 v8, 0x3f737871, v7
	v_fma_f32 v49, v66, v13, -v6
	v_mul_f32_e32 v6, v61, v26
	v_fmac_f32_e32 v10, 0xbf167918, v9
	v_add_f32_e32 v11, v11, v12
	v_fmac_f32_e32 v8, 0x3f167918, v9
	v_fma_f32 v51, v60, v27, -v6
	s_waitcnt lgkmcnt(0)
	v_mul_f32_e32 v6, v63, v28
	v_fmac_f32_e32 v10, 0x3e9e377a, v11
	v_fmac_f32_e32 v8, 0x3e9e377a, v11
	v_add_f32_e32 v11, v36, v15
	v_fma_f32 v52, v62, v29, -v6
	v_add_f32_e32 v6, v0, v36
	v_fma_f32 v0, -0.5, v11, v0
	v_mov_b32_e32 v12, v0
	v_add_f32_e32 v6, v6, v38
	v_fmac_f32_e32 v12, 0x3f737871, v9
	v_sub_f32_e32 v11, v38, v36
	v_sub_f32_e32 v13, v40, v15
	v_fmac_f32_e32 v0, 0xbf737871, v9
	v_add_f32_e32 v9, v39, v14
	v_add_f32_e32 v6, v6, v40
	v_fmac_f32_e32 v12, 0xbf167918, v7
	v_add_f32_e32 v11, v11, v13
	v_fmac_f32_e32 v0, 0x3f167918, v7
	v_fma_f32 v9, -0.5, v9, v1
	v_mul_f32_e32 v25, v55, v19
	v_add_f32_e32 v6, v6, v15
	v_fmac_f32_e32 v12, 0x3e9e377a, v11
	v_fmac_f32_e32 v0, 0x3e9e377a, v11
	v_sub_f32_e32 v15, v36, v15
	v_mov_b32_e32 v11, v9
	v_fmac_f32_e32 v25, v54, v18
	v_fmac_f32_e32 v11, 0x3f737871, v15
	v_sub_f32_e32 v17, v38, v40
	v_sub_f32_e32 v13, v37, v39
	;; [unrolled: 1-line block ×3, first 2 shown]
	v_fmac_f32_e32 v9, 0xbf737871, v15
	v_fmac_f32_e32 v11, 0x3f167918, v17
	v_add_f32_e32 v13, v13, v18
	v_fmac_f32_e32 v9, 0xbf167918, v17
	v_fmac_f32_e32 v11, 0x3e9e377a, v13
	;; [unrolled: 1-line block ×3, first 2 shown]
	v_add_f32_e32 v13, v37, v16
	v_add_f32_e32 v7, v1, v37
	v_fma_f32 v1, -0.5, v13, v1
	v_mov_b32_e32 v13, v1
	v_add_f32_e32 v7, v7, v39
	v_fmac_f32_e32 v13, 0xbf737871, v17
	v_fmac_f32_e32 v1, 0x3f737871, v17
	v_add_f32_e32 v7, v7, v14
	v_fmac_f32_e32 v13, 0x3f167918, v15
	v_fmac_f32_e32 v1, 0xbf167918, v15
	v_add_f32_e32 v15, v21, v44
	v_add_f32_e32 v7, v7, v16
	v_sub_f32_e32 v18, v39, v37
	v_sub_f32_e32 v14, v14, v16
	v_fma_f32 v16, -0.5, v15, v2
	v_fmac_f32_e32 v41, v56, v20
	v_add_f32_e32 v14, v18, v14
	v_sub_f32_e32 v15, v42, v45
	v_mov_b32_e32 v18, v16
	v_fmac_f32_e32 v18, 0xbf737871, v15
	v_sub_f32_e32 v17, v43, v24
	v_sub_f32_e32 v19, v41, v21
	;; [unrolled: 1-line block ×3, first 2 shown]
	v_fmac_f32_e32 v16, 0x3f737871, v15
	v_fmac_f32_e32 v18, 0xbf167918, v17
	v_add_f32_e32 v19, v19, v20
	v_fmac_f32_e32 v16, 0x3f167918, v17
	v_fmac_f32_e32 v18, 0x3e9e377a, v19
	;; [unrolled: 1-line block ×3, first 2 shown]
	v_add_f32_e32 v19, v41, v25
	v_fmac_f32_e32 v13, 0x3e9e377a, v14
	v_fmac_f32_e32 v1, 0x3e9e377a, v14
	v_add_f32_e32 v14, v2, v41
	v_fma_f32 v2, -0.5, v19, v2
	v_mul_f32_e32 v46, v65, v23
	v_mov_b32_e32 v20, v2
	v_fmac_f32_e32 v46, v64, v22
	v_fmac_f32_e32 v20, 0x3f737871, v17
	v_sub_f32_e32 v19, v21, v41
	v_sub_f32_e32 v22, v44, v25
	v_fmac_f32_e32 v2, 0xbf737871, v17
	v_add_f32_e32 v17, v43, v24
	v_add_f32_e32 v14, v14, v21
	v_fmac_f32_e32 v20, 0xbf167918, v15
	v_add_f32_e32 v19, v19, v22
	v_fmac_f32_e32 v2, 0x3f167918, v15
	v_fma_f32 v17, -0.5, v17, v3
	v_add_f32_e32 v14, v14, v44
	v_fmac_f32_e32 v20, 0x3e9e377a, v19
	v_fmac_f32_e32 v2, 0x3e9e377a, v19
	v_sub_f32_e32 v22, v41, v25
	v_mov_b32_e32 v19, v17
	v_add_f32_e32 v14, v14, v25
	v_fmac_f32_e32 v19, 0x3f737871, v22
	v_sub_f32_e32 v23, v21, v44
	v_sub_f32_e32 v21, v42, v43
	;; [unrolled: 1-line block ×3, first 2 shown]
	v_fmac_f32_e32 v17, 0xbf737871, v22
	v_fmac_f32_e32 v19, 0x3f167918, v23
	v_add_f32_e32 v21, v21, v25
	v_fmac_f32_e32 v17, 0xbf167918, v23
	v_fmac_f32_e32 v19, 0x3e9e377a, v21
	v_fmac_f32_e32 v17, 0x3e9e377a, v21
	v_add_f32_e32 v21, v42, v45
	v_add_f32_e32 v15, v3, v42
	v_fmac_f32_e32 v3, -0.5, v21
	v_mul_f32_e32 v50, v61, v27
	v_add_f32_e32 v15, v15, v43
	v_mov_b32_e32 v21, v3
	v_fmac_f32_e32 v50, v60, v26
	v_add_f32_e32 v15, v15, v24
	v_fmac_f32_e32 v21, 0xbf737871, v23
	v_sub_f32_e32 v25, v43, v42
	v_sub_f32_e32 v24, v24, v45
	v_fmac_f32_e32 v3, 0x3f737871, v23
	v_fmac_f32_e32 v21, 0x3f167918, v22
	v_add_f32_e32 v24, v25, v24
	v_fmac_f32_e32 v3, 0xbf167918, v22
	v_add_f32_e32 v23, v48, v50
	v_mul_f32_e32 v27, v63, v29
	v_fmac_f32_e32 v21, 0x3e9e377a, v24
	v_fmac_f32_e32 v3, 0x3e9e377a, v24
	v_fma_f32 v24, -0.5, v23, v4
	v_fmac_f32_e32 v27, v62, v28
	v_sub_f32_e32 v23, v47, v52
	v_mov_b32_e32 v26, v24
	v_fmac_f32_e32 v26, 0xbf737871, v23
	v_sub_f32_e32 v25, v49, v51
	v_sub_f32_e32 v28, v46, v48
	v_sub_f32_e32 v29, v27, v50
	v_fmac_f32_e32 v24, 0x3f737871, v23
	v_fmac_f32_e32 v26, 0xbf167918, v25
	v_add_f32_e32 v28, v28, v29
	v_fmac_f32_e32 v24, 0x3f167918, v25
	v_fmac_f32_e32 v26, 0x3e9e377a, v28
	;; [unrolled: 1-line block ×3, first 2 shown]
	v_add_f32_e32 v28, v46, v27
	v_add_f32_e32 v22, v4, v46
	v_fma_f32 v4, -0.5, v28, v4
	v_mov_b32_e32 v28, v4
	v_add_f32_e32 v22, v22, v48
	v_fmac_f32_e32 v28, 0x3f737871, v25
	v_fmac_f32_e32 v4, 0xbf737871, v25
	v_add_f32_e32 v25, v49, v51
	v_add_f32_e32 v22, v22, v50
	v_sub_f32_e32 v29, v48, v46
	v_sub_f32_e32 v36, v50, v27
	v_fma_f32 v25, -0.5, v25, v5
	v_add_f32_e32 v22, v22, v27
	v_fmac_f32_e32 v28, 0xbf167918, v23
	v_add_f32_e32 v29, v29, v36
	v_fmac_f32_e32 v4, 0x3f167918, v23
	v_sub_f32_e32 v36, v46, v27
	v_mov_b32_e32 v27, v25
	v_fmac_f32_e32 v28, 0x3e9e377a, v29
	v_fmac_f32_e32 v4, 0x3e9e377a, v29
	;; [unrolled: 1-line block ×3, first 2 shown]
	v_sub_f32_e32 v37, v48, v50
	v_sub_f32_e32 v29, v47, v49
	;; [unrolled: 1-line block ×3, first 2 shown]
	v_fmac_f32_e32 v25, 0xbf737871, v36
	v_fmac_f32_e32 v27, 0x3f167918, v37
	v_add_f32_e32 v29, v29, v38
	v_fmac_f32_e32 v25, 0xbf167918, v37
	v_fmac_f32_e32 v27, 0x3e9e377a, v29
	;; [unrolled: 1-line block ×3, first 2 shown]
	v_add_f32_e32 v29, v47, v52
	v_add_f32_e32 v23, v5, v47
	v_fmac_f32_e32 v5, -0.5, v29
	v_mov_b32_e32 v29, v5
	v_add_f32_e32 v23, v23, v49
	v_fmac_f32_e32 v29, 0xbf737871, v37
	v_sub_f32_e32 v38, v49, v47
	v_sub_f32_e32 v39, v51, v52
	v_fmac_f32_e32 v5, 0x3f737871, v37
	s_movk_i32 s2, 0x1000
	v_add_f32_e32 v15, v15, v45
	v_add_f32_e32 v23, v23, v51
	v_fmac_f32_e32 v29, 0x3f167918, v36
	v_add_f32_e32 v38, v38, v39
	v_fmac_f32_e32 v5, 0xbf167918, v36
	;; [unrolled: 2-line block ×3, first 2 shown]
	v_fmac_f32_e32 v5, 0x3e9e377a, v38
	ds_write2_b64 v125, v[6:7], v[14:15] offset1:102
	ds_write2_b64 v31, v[12:13], v[20:21] offset0:100 offset1:202
	ds_write2_b64 v33, v[8:9], v[16:17] offset0:72 offset1:174
	;; [unrolled: 1-line block ×6, first 2 shown]
	ds_write_b64 v125, v[24:25] offset:11424
	s_waitcnt lgkmcnt(0)
	s_barrier
	s_and_b64 exec, exec, s[0:1]
	s_cbranch_execz .LBB0_23
; %bb.22:
	global_load_dwordx2 v[0:1], v123, s[6:7]
	ds_read_b64 v[4:5], v125
	v_mad_u64_u32 v[2:3], s[0:1], s10, v108, 0
	v_mad_u64_u32 v[6:7], s[0:1], s8, v124, 0
	s_waitcnt lgkmcnt(0)
	v_mad_u64_u32 v[8:9], s[4:5], s11, v108, v[3:4]
	s_mov_b32 s0, 0x156ac015
	s_mov_b32 s1, 0x3f456ac0
	v_mad_u64_u32 v[9:10], s[4:5], s9, v124, v[7:8]
	v_mov_b32_e32 v11, s13
	s_mul_i32 s4, s9, 0x2d0
	v_mov_b32_e32 v7, v9
	v_lshlrev_b64 v[6:7], 3, v[6:7]
	s_mul_hi_u32 s5, s8, 0x2d0
	s_mul_i32 s3, s8, 0x2d0
	s_add_i32 s4, s5, s4
	v_mov_b32_e32 v12, s4
	s_waitcnt vmcnt(0)
	v_mul_f32_e32 v3, v5, v1
	v_mul_f32_e32 v1, v4, v1
	v_fmac_f32_e32 v3, v4, v0
	v_fma_f32 v4, v0, v5, -v1
	v_cvt_f64_f32_e32 v[0:1], v3
	v_cvt_f64_f32_e32 v[4:5], v4
	v_mov_b32_e32 v3, v8
	v_lshlrev_b64 v[2:3], 3, v[2:3]
	v_mul_f64 v[0:1], v[0:1], s[0:1]
	v_mul_f64 v[4:5], v[4:5], s[0:1]
	v_add_co_u32_e32 v2, vcc, s12, v2
	v_addc_co_u32_e32 v3, vcc, v11, v3, vcc
	v_cvt_f32_f64_e32 v0, v[0:1]
	v_cvt_f32_f64_e32 v1, v[4:5]
	v_add_co_u32_e32 v4, vcc, v2, v6
	v_addc_co_u32_e32 v5, vcc, v3, v7, vcc
	global_store_dwordx2 v[4:5], v[0:1], off
	global_load_dwordx2 v[6:7], v123, s[6:7] offset:720
	ds_read2_b64 v[0:3], v123 offset0:90 offset1:180
	v_add_co_u32_e32 v4, vcc, s3, v4
	s_waitcnt vmcnt(0) lgkmcnt(0)
	v_mul_f32_e32 v8, v1, v7
	v_mul_f32_e32 v7, v0, v7
	v_fmac_f32_e32 v8, v0, v6
	v_fma_f32 v6, v6, v1, -v7
	v_cvt_f64_f32_e32 v[0:1], v8
	v_cvt_f64_f32_e32 v[6:7], v6
	v_mov_b32_e32 v8, s4
	v_addc_co_u32_e32 v5, vcc, v5, v8, vcc
	v_mul_f64 v[0:1], v[0:1], s[0:1]
	v_mul_f64 v[6:7], v[6:7], s[0:1]
	v_cvt_f32_f64_e32 v0, v[0:1]
	v_cvt_f32_f64_e32 v1, v[6:7]
	global_store_dwordx2 v[4:5], v[0:1], off
	global_load_dwordx2 v[0:1], v123, s[6:7] offset:1440
	v_add_co_u32_e32 v4, vcc, s3, v4
	s_waitcnt vmcnt(0)
	v_mul_f32_e32 v6, v3, v1
	v_mul_f32_e32 v1, v2, v1
	v_fmac_f32_e32 v6, v2, v0
	v_fma_f32 v2, v0, v3, -v1
	v_cvt_f64_f32_e32 v[0:1], v6
	v_cvt_f64_f32_e32 v[2:3], v2
	v_mov_b32_e32 v6, s4
	v_addc_co_u32_e32 v5, vcc, v5, v6, vcc
	v_mul_f64 v[0:1], v[0:1], s[0:1]
	v_mul_f64 v[2:3], v[2:3], s[0:1]
	v_cvt_f32_f64_e32 v0, v[0:1]
	v_cvt_f32_f64_e32 v1, v[2:3]
	global_store_dwordx2 v[4:5], v[0:1], off
	global_load_dwordx2 v[6:7], v123, s[6:7] offset:2160
	v_add_u32_e32 v0, 0x800, v123
	ds_read2_b64 v[0:3], v0 offset0:14 offset1:104
	v_add_co_u32_e32 v4, vcc, s3, v4
	s_waitcnt vmcnt(0) lgkmcnt(0)
	v_mul_f32_e32 v8, v1, v7
	v_mul_f32_e32 v7, v0, v7
	v_fmac_f32_e32 v8, v0, v6
	v_fma_f32 v6, v6, v1, -v7
	v_cvt_f64_f32_e32 v[0:1], v8
	v_cvt_f64_f32_e32 v[6:7], v6
	v_mov_b32_e32 v8, s4
	v_addc_co_u32_e32 v5, vcc, v5, v8, vcc
	v_mul_f64 v[0:1], v[0:1], s[0:1]
	v_mul_f64 v[6:7], v[6:7], s[0:1]
	v_cvt_f32_f64_e32 v0, v[0:1]
	v_cvt_f32_f64_e32 v1, v[6:7]
	global_store_dwordx2 v[4:5], v[0:1], off
	global_load_dwordx2 v[0:1], v123, s[6:7] offset:2880
	v_add_co_u32_e32 v4, vcc, s3, v4
	s_waitcnt vmcnt(0)
	v_mul_f32_e32 v6, v3, v1
	v_mul_f32_e32 v1, v2, v1
	v_fmac_f32_e32 v6, v2, v0
	v_fma_f32 v2, v0, v3, -v1
	v_cvt_f64_f32_e32 v[0:1], v6
	v_cvt_f64_f32_e32 v[2:3], v2
	v_mov_b32_e32 v6, s4
	v_addc_co_u32_e32 v5, vcc, v5, v6, vcc
	v_mul_f64 v[0:1], v[0:1], s[0:1]
	v_mul_f64 v[2:3], v[2:3], s[0:1]
	v_add_co_u32_e32 v10, vcc, s6, v123
	v_cvt_f32_f64_e32 v0, v[0:1]
	v_cvt_f32_f64_e32 v1, v[2:3]
	global_store_dwordx2 v[4:5], v[0:1], off
	global_load_dwordx2 v[6:7], v123, s[6:7] offset:3600
	v_add_u32_e32 v0, 0xc00, v123
	ds_read2_b64 v[0:3], v0 offset0:66 offset1:156
	s_waitcnt vmcnt(0) lgkmcnt(0)
	v_mul_f32_e32 v8, v1, v7
	v_mul_f32_e32 v7, v0, v7
	v_fmac_f32_e32 v8, v0, v6
	v_fma_f32 v6, v6, v1, -v7
	v_cvt_f64_f32_e32 v[0:1], v8
	v_cvt_f64_f32_e32 v[6:7], v6
	v_mov_b32_e32 v8, s7
	v_addc_co_u32_e32 v11, vcc, 0, v8, vcc
	v_mul_f64 v[0:1], v[0:1], s[0:1]
	v_mul_f64 v[6:7], v[6:7], s[0:1]
	v_add_co_u32_e32 v8, vcc, s2, v10
	v_addc_co_u32_e32 v9, vcc, 0, v11, vcc
	v_add_co_u32_e32 v4, vcc, s3, v4
	v_cvt_f32_f64_e32 v0, v[0:1]
	v_cvt_f32_f64_e32 v1, v[6:7]
	v_addc_co_u32_e32 v5, vcc, v5, v12, vcc
	s_movk_i32 s2, 0x2000
	global_store_dwordx2 v[4:5], v[0:1], off
	global_load_dwordx2 v[0:1], v[8:9], off offset:224
	v_add_co_u32_e32 v4, vcc, s3, v4
	s_waitcnt vmcnt(0)
	v_mul_f32_e32 v6, v3, v1
	v_mul_f32_e32 v1, v2, v1
	v_fmac_f32_e32 v6, v2, v0
	v_fma_f32 v2, v0, v3, -v1
	v_cvt_f64_f32_e32 v[0:1], v6
	v_cvt_f64_f32_e32 v[2:3], v2
	v_mov_b32_e32 v6, s4
	v_addc_co_u32_e32 v5, vcc, v5, v6, vcc
	v_mul_f64 v[0:1], v[0:1], s[0:1]
	v_mul_f64 v[2:3], v[2:3], s[0:1]
	v_cvt_f32_f64_e32 v0, v[0:1]
	v_cvt_f32_f64_e32 v1, v[2:3]
	global_store_dwordx2 v[4:5], v[0:1], off
	global_load_dwordx2 v[6:7], v[8:9], off offset:944
	v_add_u32_e32 v0, 0x1000, v123
	ds_read2_b64 v[0:3], v0 offset0:118 offset1:208
	v_add_co_u32_e32 v4, vcc, s3, v4
	s_waitcnt vmcnt(0) lgkmcnt(0)
	v_mul_f32_e32 v12, v1, v7
	v_mul_f32_e32 v7, v0, v7
	v_fmac_f32_e32 v12, v0, v6
	v_fma_f32 v6, v6, v1, -v7
	v_cvt_f64_f32_e32 v[0:1], v12
	v_cvt_f64_f32_e32 v[6:7], v6
	v_mov_b32_e32 v12, s4
	v_addc_co_u32_e32 v5, vcc, v5, v12, vcc
	v_mul_f64 v[0:1], v[0:1], s[0:1]
	v_mul_f64 v[6:7], v[6:7], s[0:1]
	v_cvt_f32_f64_e32 v0, v[0:1]
	v_cvt_f32_f64_e32 v1, v[6:7]
	global_store_dwordx2 v[4:5], v[0:1], off
	global_load_dwordx2 v[0:1], v[8:9], off offset:1664
	v_add_co_u32_e32 v4, vcc, s3, v4
	s_waitcnt vmcnt(0)
	v_mul_f32_e32 v6, v3, v1
	v_mul_f32_e32 v1, v2, v1
	v_fmac_f32_e32 v6, v2, v0
	v_fma_f32 v2, v0, v3, -v1
	v_cvt_f64_f32_e32 v[0:1], v6
	v_cvt_f64_f32_e32 v[2:3], v2
	v_mov_b32_e32 v6, s4
	v_addc_co_u32_e32 v5, vcc, v5, v6, vcc
	v_mul_f64 v[0:1], v[0:1], s[0:1]
	v_mul_f64 v[2:3], v[2:3], s[0:1]
	v_cvt_f32_f64_e32 v0, v[0:1]
	v_cvt_f32_f64_e32 v1, v[2:3]
	global_store_dwordx2 v[4:5], v[0:1], off
	global_load_dwordx2 v[6:7], v[8:9], off offset:2384
	v_add_u32_e32 v0, 0x1800, v123
	ds_read2_b64 v[0:3], v0 offset0:42 offset1:132
	v_add_co_u32_e32 v4, vcc, s3, v4
	s_waitcnt vmcnt(0) lgkmcnt(0)
	v_mul_f32_e32 v12, v1, v7
	v_mul_f32_e32 v7, v0, v7
	v_fmac_f32_e32 v12, v0, v6
	v_fma_f32 v6, v6, v1, -v7
	v_cvt_f64_f32_e32 v[0:1], v12
	v_cvt_f64_f32_e32 v[6:7], v6
	v_mov_b32_e32 v12, s4
	v_addc_co_u32_e32 v5, vcc, v5, v12, vcc
	v_mul_f64 v[0:1], v[0:1], s[0:1]
	v_mul_f64 v[6:7], v[6:7], s[0:1]
	v_cvt_f32_f64_e32 v0, v[0:1]
	v_cvt_f32_f64_e32 v1, v[6:7]
	global_store_dwordx2 v[4:5], v[0:1], off
	global_load_dwordx2 v[0:1], v[8:9], off offset:3104
	v_add_co_u32_e32 v4, vcc, s3, v4
	s_waitcnt vmcnt(0)
	v_mul_f32_e32 v6, v3, v1
	v_mul_f32_e32 v1, v2, v1
	v_fmac_f32_e32 v6, v2, v0
	v_fma_f32 v2, v0, v3, -v1
	v_cvt_f64_f32_e32 v[0:1], v6
	v_cvt_f64_f32_e32 v[2:3], v2
	v_mov_b32_e32 v6, s4
	v_addc_co_u32_e32 v5, vcc, v5, v6, vcc
	v_mul_f64 v[0:1], v[0:1], s[0:1]
	v_mul_f64 v[2:3], v[2:3], s[0:1]
	v_cvt_f32_f64_e32 v0, v[0:1]
	v_cvt_f32_f64_e32 v1, v[2:3]
	global_store_dwordx2 v[4:5], v[0:1], off
	global_load_dwordx2 v[6:7], v[8:9], off offset:3824
	v_add_u32_e32 v0, 0x1c00, v123
	ds_read2_b64 v[0:3], v0 offset0:94 offset1:184
	s_waitcnt vmcnt(0) lgkmcnt(0)
	v_mul_f32_e32 v8, v1, v7
	v_mul_f32_e32 v7, v0, v7
	v_fmac_f32_e32 v8, v0, v6
	v_fma_f32 v6, v6, v1, -v7
	v_cvt_f64_f32_e32 v[0:1], v8
	v_cvt_f64_f32_e32 v[6:7], v6
	v_add_co_u32_e32 v8, vcc, s2, v10
	v_mul_f64 v[0:1], v[0:1], s[0:1]
	v_mul_f64 v[6:7], v[6:7], s[0:1]
	v_addc_co_u32_e32 v9, vcc, 0, v11, vcc
	v_add_co_u32_e32 v4, vcc, s3, v4
	v_addc_co_u32_e32 v5, vcc, v5, v12, vcc
	v_cvt_f32_f64_e32 v0, v[0:1]
	v_cvt_f32_f64_e32 v1, v[6:7]
	global_store_dwordx2 v[4:5], v[0:1], off
	global_load_dwordx2 v[0:1], v[8:9], off offset:448
	v_add_co_u32_e32 v4, vcc, s3, v4
	s_waitcnt vmcnt(0)
	v_mul_f32_e32 v6, v3, v1
	v_mul_f32_e32 v1, v2, v1
	v_fmac_f32_e32 v6, v2, v0
	v_fma_f32 v2, v0, v3, -v1
	v_cvt_f64_f32_e32 v[0:1], v6
	v_cvt_f64_f32_e32 v[2:3], v2
	v_mov_b32_e32 v6, s4
	v_addc_co_u32_e32 v5, vcc, v5, v6, vcc
	v_mul_f64 v[0:1], v[0:1], s[0:1]
	v_mul_f64 v[2:3], v[2:3], s[0:1]
	v_cvt_f32_f64_e32 v0, v[0:1]
	v_cvt_f32_f64_e32 v1, v[2:3]
	global_store_dwordx2 v[4:5], v[0:1], off
	global_load_dwordx2 v[6:7], v[8:9], off offset:1168
	v_add_u32_e32 v0, 0x2000, v123
	ds_read2_b64 v[0:3], v0 offset0:146 offset1:236
	v_add_co_u32_e32 v4, vcc, s3, v4
	s_waitcnt vmcnt(0) lgkmcnt(0)
	v_mul_f32_e32 v10, v1, v7
	v_mul_f32_e32 v7, v0, v7
	v_fmac_f32_e32 v10, v0, v6
	v_fma_f32 v6, v6, v1, -v7
	v_cvt_f64_f32_e32 v[0:1], v10
	v_cvt_f64_f32_e32 v[6:7], v6
	v_mov_b32_e32 v10, s4
	v_addc_co_u32_e32 v5, vcc, v5, v10, vcc
	v_mul_f64 v[0:1], v[0:1], s[0:1]
	v_mul_f64 v[6:7], v[6:7], s[0:1]
	v_cvt_f32_f64_e32 v0, v[0:1]
	v_cvt_f32_f64_e32 v1, v[6:7]
	global_store_dwordx2 v[4:5], v[0:1], off
	global_load_dwordx2 v[0:1], v[8:9], off offset:1888
	v_add_co_u32_e32 v4, vcc, s3, v4
	s_waitcnt vmcnt(0)
	v_mul_f32_e32 v6, v3, v1
	v_mul_f32_e32 v1, v2, v1
	v_fmac_f32_e32 v6, v2, v0
	v_fma_f32 v2, v0, v3, -v1
	v_cvt_f64_f32_e32 v[0:1], v6
	v_cvt_f64_f32_e32 v[2:3], v2
	v_mov_b32_e32 v6, s4
	v_addc_co_u32_e32 v5, vcc, v5, v6, vcc
	v_mul_f64 v[0:1], v[0:1], s[0:1]
	v_mul_f64 v[2:3], v[2:3], s[0:1]
	v_cvt_f32_f64_e32 v0, v[0:1]
	v_cvt_f32_f64_e32 v1, v[2:3]
	global_store_dwordx2 v[4:5], v[0:1], off
	global_load_dwordx2 v[6:7], v[8:9], off offset:2608
	v_add_u32_e32 v0, 0x2800, v123
	ds_read2_b64 v[0:3], v0 offset0:70 offset1:160
	v_add_co_u32_e32 v4, vcc, s3, v4
	s_waitcnt vmcnt(0) lgkmcnt(0)
	v_mul_f32_e32 v10, v1, v7
	v_mul_f32_e32 v7, v0, v7
	v_fmac_f32_e32 v10, v0, v6
	v_fma_f32 v6, v6, v1, -v7
	v_cvt_f64_f32_e32 v[0:1], v10
	v_cvt_f64_f32_e32 v[6:7], v6
	v_mov_b32_e32 v10, s4
	v_addc_co_u32_e32 v5, vcc, v5, v10, vcc
	v_mul_f64 v[0:1], v[0:1], s[0:1]
	v_mul_f64 v[6:7], v[6:7], s[0:1]
	v_cvt_f32_f64_e32 v0, v[0:1]
	v_cvt_f32_f64_e32 v1, v[6:7]
	global_store_dwordx2 v[4:5], v[0:1], off
	global_load_dwordx2 v[0:1], v[8:9], off offset:3328
	s_waitcnt vmcnt(0)
	v_mul_f32_e32 v6, v3, v1
	v_mul_f32_e32 v1, v2, v1
	v_fmac_f32_e32 v6, v2, v0
	v_fma_f32 v2, v0, v3, -v1
	v_cvt_f64_f32_e32 v[0:1], v6
	v_cvt_f64_f32_e32 v[2:3], v2
	v_mov_b32_e32 v6, s4
	v_mul_f64 v[0:1], v[0:1], s[0:1]
	v_mul_f64 v[2:3], v[2:3], s[0:1]
	v_cvt_f32_f64_e32 v0, v[0:1]
	v_cvt_f32_f64_e32 v1, v[2:3]
	v_add_co_u32_e32 v2, vcc, s3, v4
	v_addc_co_u32_e32 v3, vcc, v5, v6, vcc
	global_store_dwordx2 v[2:3], v[0:1], off
.LBB0_23:
	s_endpgm
	.section	.rodata,"a",@progbits
	.p2align	6, 0x0
	.amdhsa_kernel bluestein_single_fwd_len1530_dim1_sp_op_CI_CI
		.amdhsa_group_segment_fixed_size 12240
		.amdhsa_private_segment_fixed_size 112
		.amdhsa_kernarg_size 104
		.amdhsa_user_sgpr_count 6
		.amdhsa_user_sgpr_private_segment_buffer 1
		.amdhsa_user_sgpr_dispatch_ptr 0
		.amdhsa_user_sgpr_queue_ptr 0
		.amdhsa_user_sgpr_kernarg_segment_ptr 1
		.amdhsa_user_sgpr_dispatch_id 0
		.amdhsa_user_sgpr_flat_scratch_init 0
		.amdhsa_user_sgpr_private_segment_size 0
		.amdhsa_uses_dynamic_stack 0
		.amdhsa_system_sgpr_private_segment_wavefront_offset 1
		.amdhsa_system_sgpr_workgroup_id_x 1
		.amdhsa_system_sgpr_workgroup_id_y 0
		.amdhsa_system_sgpr_workgroup_id_z 0
		.amdhsa_system_sgpr_workgroup_info 0
		.amdhsa_system_vgpr_workitem_id 0
		.amdhsa_next_free_vgpr 256
		.amdhsa_next_free_sgpr 28
		.amdhsa_reserve_vcc 1
		.amdhsa_reserve_flat_scratch 0
		.amdhsa_float_round_mode_32 0
		.amdhsa_float_round_mode_16_64 0
		.amdhsa_float_denorm_mode_32 3
		.amdhsa_float_denorm_mode_16_64 3
		.amdhsa_dx10_clamp 1
		.amdhsa_ieee_mode 1
		.amdhsa_fp16_overflow 0
		.amdhsa_exception_fp_ieee_invalid_op 0
		.amdhsa_exception_fp_denorm_src 0
		.amdhsa_exception_fp_ieee_div_zero 0
		.amdhsa_exception_fp_ieee_overflow 0
		.amdhsa_exception_fp_ieee_underflow 0
		.amdhsa_exception_fp_ieee_inexact 0
		.amdhsa_exception_int_div_zero 0
	.end_amdhsa_kernel
	.text
.Lfunc_end0:
	.size	bluestein_single_fwd_len1530_dim1_sp_op_CI_CI, .Lfunc_end0-bluestein_single_fwd_len1530_dim1_sp_op_CI_CI
                                        ; -- End function
	.section	.AMDGPU.csdata,"",@progbits
; Kernel info:
; codeLenInByte = 22696
; NumSgprs: 32
; NumVgprs: 256
; ScratchSize: 112
; MemoryBound: 0
; FloatMode: 240
; IeeeMode: 1
; LDSByteSize: 12240 bytes/workgroup (compile time only)
; SGPRBlocks: 3
; VGPRBlocks: 63
; NumSGPRsForWavesPerEU: 32
; NumVGPRsForWavesPerEU: 256
; Occupancy: 1
; WaveLimiterHint : 1
; COMPUTE_PGM_RSRC2:SCRATCH_EN: 1
; COMPUTE_PGM_RSRC2:USER_SGPR: 6
; COMPUTE_PGM_RSRC2:TRAP_HANDLER: 0
; COMPUTE_PGM_RSRC2:TGID_X_EN: 1
; COMPUTE_PGM_RSRC2:TGID_Y_EN: 0
; COMPUTE_PGM_RSRC2:TGID_Z_EN: 0
; COMPUTE_PGM_RSRC2:TIDIG_COMP_CNT: 0
	.type	__hip_cuid_b379b4743663a1a,@object ; @__hip_cuid_b379b4743663a1a
	.section	.bss,"aw",@nobits
	.globl	__hip_cuid_b379b4743663a1a
__hip_cuid_b379b4743663a1a:
	.byte	0                               ; 0x0
	.size	__hip_cuid_b379b4743663a1a, 1

	.ident	"AMD clang version 19.0.0git (https://github.com/RadeonOpenCompute/llvm-project roc-6.4.0 25133 c7fe45cf4b819c5991fe208aaa96edf142730f1d)"
	.section	".note.GNU-stack","",@progbits
	.addrsig
	.addrsig_sym __hip_cuid_b379b4743663a1a
	.amdgpu_metadata
---
amdhsa.kernels:
  - .args:
      - .actual_access:  read_only
        .address_space:  global
        .offset:         0
        .size:           8
        .value_kind:     global_buffer
      - .actual_access:  read_only
        .address_space:  global
        .offset:         8
        .size:           8
        .value_kind:     global_buffer
      - .actual_access:  read_only
        .address_space:  global
        .offset:         16
        .size:           8
        .value_kind:     global_buffer
      - .actual_access:  read_only
        .address_space:  global
        .offset:         24
        .size:           8
        .value_kind:     global_buffer
      - .actual_access:  read_only
        .address_space:  global
        .offset:         32
        .size:           8
        .value_kind:     global_buffer
      - .offset:         40
        .size:           8
        .value_kind:     by_value
      - .address_space:  global
        .offset:         48
        .size:           8
        .value_kind:     global_buffer
      - .address_space:  global
        .offset:         56
        .size:           8
        .value_kind:     global_buffer
      - .address_space:  global
        .offset:         64
        .size:           8
        .value_kind:     global_buffer
      - .address_space:  global
        .offset:         72
        .size:           8
        .value_kind:     global_buffer
      - .offset:         80
        .size:           4
        .value_kind:     by_value
      - .address_space:  global
        .offset:         88
        .size:           8
        .value_kind:     global_buffer
      - .address_space:  global
        .offset:         96
        .size:           8
        .value_kind:     global_buffer
    .group_segment_fixed_size: 12240
    .kernarg_segment_align: 8
    .kernarg_segment_size: 104
    .language:       OpenCL C
    .language_version:
      - 2
      - 0
    .max_flat_workgroup_size: 102
    .name:           bluestein_single_fwd_len1530_dim1_sp_op_CI_CI
    .private_segment_fixed_size: 112
    .sgpr_count:     32
    .sgpr_spill_count: 0
    .symbol:         bluestein_single_fwd_len1530_dim1_sp_op_CI_CI.kd
    .uniform_work_group_size: 1
    .uses_dynamic_stack: false
    .vgpr_count:     256
    .vgpr_spill_count: 27
    .wavefront_size: 64
amdhsa.target:   amdgcn-amd-amdhsa--gfx906
amdhsa.version:
  - 1
  - 2
...

	.end_amdgpu_metadata
